;; amdgpu-corpus repo=ROCm/rocFFT kind=compiled arch=gfx906 opt=O3
	.text
	.amdgcn_target "amdgcn-amd-amdhsa--gfx906"
	.amdhsa_code_object_version 6
	.protected	bluestein_single_fwd_len1734_dim1_half_op_CI_CI ; -- Begin function bluestein_single_fwd_len1734_dim1_half_op_CI_CI
	.globl	bluestein_single_fwd_len1734_dim1_half_op_CI_CI
	.p2align	8
	.type	bluestein_single_fwd_len1734_dim1_half_op_CI_CI,@function
bluestein_single_fwd_len1734_dim1_half_op_CI_CI: ; @bluestein_single_fwd_len1734_dim1_half_op_CI_CI
; %bb.0:
	s_load_dwordx4 s[8:11], s[4:5], 0x28
	v_mul_u32_u24_e32 v1, 0x283, v0
	v_add_u32_sdwa v28, s6, v1 dst_sel:DWORD dst_unused:UNUSED_PAD src0_sel:DWORD src1_sel:WORD_1
	v_mov_b32_e32 v29, 0
	s_waitcnt lgkmcnt(0)
	v_cmp_gt_u64_e32 vcc, s[8:9], v[28:29]
	s_and_saveexec_b64 s[0:1], vcc
	s_cbranch_execz .LBB0_10
; %bb.1:
	s_load_dwordx4 s[0:3], s[4:5], 0x18
	s_load_dwordx4 s[12:15], s[4:5], 0x0
	s_waitcnt lgkmcnt(0)
	v_mov_b32_e32 v7, s13
	s_load_dwordx4 s[16:19], s[0:1], 0x0
	s_movk_i32 s0, 0x66
	v_mul_lo_u16_sdwa v1, v1, s0 dst_sel:DWORD dst_unused:UNUSED_PAD src0_sel:WORD_1 src1_sel:DWORD
	v_sub_u16_e32 v57, v0, v1
	v_lshlrev_b32_e32 v41, 2, v57
	s_waitcnt lgkmcnt(0)
	v_mad_u64_u32 v[0:1], s[0:1], s18, v28, 0
	v_mad_u64_u32 v[2:3], s[0:1], s16, v57, 0
	s_mul_hi_u32 s6, s16, 0x198
	s_mul_i32 s7, s16, 0x198
	v_mad_u64_u32 v[4:5], s[0:1], s19, v28, v[1:2]
	v_add_u32_e32 v19, 0x200, v41
	v_add_u32_e32 v17, 0x800, v41
	v_mad_u64_u32 v[5:6], s[0:1], s17, v57, v[3:4]
	v_mov_b32_e32 v1, v4
	v_lshlrev_b64 v[0:1], 2, v[0:1]
	v_mov_b32_e32 v6, s11
	v_mov_b32_e32 v3, v5
	v_add_co_u32_e32 v4, vcc, s10, v0
	v_addc_co_u32_e32 v5, vcc, v6, v1, vcc
	v_lshlrev_b64 v[0:1], 2, v[2:3]
	s_mul_i32 s0, s17, 0x198
	v_add_co_u32_e32 v0, vcc, v4, v0
	v_addc_co_u32_e32 v1, vcc, v5, v1, vcc
	s_add_i32 s6, s6, s0
	v_mov_b32_e32 v3, s6
	v_add_co_u32_e32 v2, vcc, s7, v0
	v_addc_co_u32_e32 v3, vcc, v1, v3, vcc
	global_load_dword v4, v[0:1], off
	global_load_dword v5, v[2:3], off
	global_load_dword v59, v41, s[12:13]
	global_load_dword v58, v41, s[12:13] offset:408
	v_mov_b32_e32 v1, s6
	v_add_co_u32_e32 v0, vcc, s7, v2
	v_addc_co_u32_e32 v1, vcc, v3, v1, vcc
	global_load_dword v2, v[0:1], off
	global_load_dword v56, v41, s[12:13] offset:816
	v_mov_b32_e32 v3, s6
	v_add_co_u32_e32 v0, vcc, s7, v0
	v_addc_co_u32_e32 v1, vcc, v1, v3, vcc
	global_load_dword v3, v[0:1], off
	;; [unrolled: 5-line block ×3, first 2 shown]
	global_load_dword v54, v41, s[12:13] offset:1632
	v_add_co_u32_e32 v60, vcc, s12, v41
	v_addc_co_u32_e64 v7, s[0:1], 0, v7, vcc
	v_mov_b32_e32 v8, s6
	v_add_co_u32_e64 v0, s[0:1], s7, v0
	v_addc_co_u32_e64 v1, s[0:1], v1, v8, s[0:1]
	s_load_dwordx4 s[8:11], s[2:3], 0x0
	global_load_dword v53, v41, s[12:13] offset:2040
	global_load_dword v52, v41, s[12:13] offset:2448
	;; [unrolled: 1-line block ×3, first 2 shown]
	global_load_dword v8, v[0:1], off
	v_mov_b32_e32 v9, s6
	v_add_co_u32_e64 v0, s[0:1], s7, v0
	v_addc_co_u32_e64 v1, s[0:1], v1, v9, s[0:1]
	v_mov_b32_e32 v15, s6
	v_mov_b32_e32 v16, s6
	v_add_u32_e32 v18, 0xc00, v41
	v_add_u32_e32 v22, 0xe00, v41
	;; [unrolled: 1-line block ×3, first 2 shown]
	s_movk_i32 s2, 0x39e9
	s_mov_b32 s3, 0xb461
	s_mov_b32 s16, 0xbbdd
	s_movk_i32 s17, 0xf1
	s_load_dwordx2 s[4:5], s[4:5], 0x38
	s_waitcnt vmcnt(13)
	v_lshrrev_b32_e32 v10, 16, v4
	s_waitcnt vmcnt(11)
	v_mul_f16_sdwa v11, v59, v4 dst_sel:DWORD dst_unused:UNUSED_PAD src0_sel:WORD_1 src1_sel:DWORD
	v_mul_f16_sdwa v12, v59, v10 dst_sel:DWORD dst_unused:UNUSED_PAD src0_sel:WORD_1 src1_sel:DWORD
	v_fma_f16 v10, v59, v10, -v11
	v_lshrrev_b32_e32 v11, 16, v5
	s_waitcnt vmcnt(10)
	v_mul_f16_sdwa v13, v58, v5 dst_sel:DWORD dst_unused:UNUSED_PAD src0_sel:WORD_1 src1_sel:DWORD
	v_fma_f16 v4, v59, v4, v12
	v_mul_f16_sdwa v12, v58, v11 dst_sel:DWORD dst_unused:UNUSED_PAD src0_sel:WORD_1 src1_sel:DWORD
	v_fma_f16 v11, v58, v11, -v13
	s_waitcnt vmcnt(9)
	v_lshrrev_b32_e32 v13, 16, v2
	s_waitcnt vmcnt(8)
	v_mul_f16_sdwa v14, v56, v2 dst_sel:DWORD dst_unused:UNUSED_PAD src0_sel:WORD_1 src1_sel:DWORD
	v_pack_b32_f16 v4, v4, v10
	v_fma_f16 v5, v58, v5, v12
	v_mul_f16_sdwa v10, v56, v13 dst_sel:DWORD dst_unused:UNUSED_PAD src0_sel:WORD_1 src1_sel:DWORD
	v_fma_f16 v12, v56, v13, -v14
	s_waitcnt vmcnt(7)
	v_lshrrev_b32_e32 v13, 16, v3
	s_waitcnt vmcnt(6)
	v_mul_f16_sdwa v14, v55, v3 dst_sel:DWORD dst_unused:UNUSED_PAD src0_sel:WORD_1 src1_sel:DWORD
	v_pack_b32_f16 v5, v5, v11
	v_fma_f16 v2, v56, v2, v10
	v_mul_f16_sdwa v10, v55, v13 dst_sel:DWORD dst_unused:UNUSED_PAD src0_sel:WORD_1 src1_sel:DWORD
	v_fma_f16 v11, v55, v13, -v14
	s_waitcnt vmcnt(5)
	v_lshrrev_b32_e32 v13, 16, v6
	ds_write2_b32 v41, v4, v5 offset1:102
	v_fma_f16 v3, v55, v3, v10
	s_waitcnt vmcnt(4)
	v_mul_f16_sdwa v4, v54, v13 dst_sel:DWORD dst_unused:UNUSED_PAD src0_sel:WORD_1 src1_sel:DWORD
	v_mul_f16_sdwa v14, v54, v6 dst_sel:DWORD dst_unused:UNUSED_PAD src0_sel:WORD_1 src1_sel:DWORD
	v_pack_b32_f16 v2, v2, v12
	v_pack_b32_f16 v3, v3, v11
	v_fma_f16 v4, v54, v6, v4
	global_load_dword v6, v[0:1], off
	ds_write2_b32 v19, v2, v3 offset0:76 offset1:178
	v_mov_b32_e32 v2, s6
	v_add_co_u32_e64 v0, s[0:1], s7, v0
	v_addc_co_u32_e64 v1, s[0:1], v1, v2, s[0:1]
	global_load_dword v9, v[0:1], off
	v_add_co_u32_e64 v0, s[0:1], s7, v0
	v_addc_co_u32_e64 v1, s[0:1], v1, v2, s[0:1]
	global_load_dword v10, v[0:1], off
	global_load_dword v50, v41, s[12:13] offset:3264
	v_add_co_u32_e64 v0, s[0:1], s7, v0
	v_addc_co_u32_e64 v1, s[0:1], v1, v2, s[0:1]
	global_load_dword v11, v[0:1], off
	v_add_co_u32_e64 v0, s[0:1], s7, v0
	v_addc_co_u32_e64 v1, s[0:1], v1, v2, s[0:1]
	global_load_dword v49, v41, s[12:13] offset:3672
	global_load_dword v12, v[0:1], off
	global_load_dword v48, v41, s[12:13] offset:4080
	v_add_co_u32_e64 v0, s[0:1], s7, v0
	v_addc_co_u32_e64 v1, s[0:1], v1, v2, s[0:1]
	s_movk_i32 s0, 0x1000
	v_add_co_u32_e64 v2, s[0:1], s0, v60
	v_fma_f16 v5, v54, v13, -v14
	global_load_dword v13, v[0:1], off
	v_addc_co_u32_e64 v3, s[0:1], 0, v7, s[0:1]
	global_load_dword v47, v[2:3], off offset:392
	v_mov_b32_e32 v7, s6
	v_add_co_u32_e64 v0, s[0:1], s7, v0
	v_addc_co_u32_e64 v1, s[0:1], v1, v7, s[0:1]
	global_load_dword v7, v[0:1], off
	global_load_dword v46, v[2:3], off offset:800
	v_mov_b32_e32 v14, s6
	v_add_co_u32_e64 v0, s[0:1], s7, v0
	v_addc_co_u32_e64 v1, s[0:1], v1, v14, s[0:1]
	global_load_dword v14, v[0:1], off
	global_load_dword v45, v[2:3], off offset:1208
	v_add_co_u32_e64 v0, s[0:1], s7, v0
	v_addc_co_u32_e64 v1, s[0:1], v1, v15, s[0:1]
	global_load_dword v15, v[0:1], off
	global_load_dword v44, v[2:3], off offset:1616
	;; [unrolled: 4-line block ×3, first 2 shown]
	v_pack_b32_f16 v4, v4, v5
	v_mov_b32_e32 v5, s6
	v_add_co_u32_e64 v0, s[0:1], s7, v0
	v_addc_co_u32_e64 v1, s[0:1], v1, v5, s[0:1]
	global_load_dword v5, v[0:1], off
	global_load_dword v42, v[2:3], off offset:2432
	s_waitcnt vmcnt(20)
	v_lshrrev_b32_e32 v0, 16, v8
	v_mul_f16_sdwa v1, v53, v0 dst_sel:DWORD dst_unused:UNUSED_PAD src0_sel:WORD_1 src1_sel:DWORD
	v_mul_f16_sdwa v2, v53, v8 dst_sel:DWORD dst_unused:UNUSED_PAD src0_sel:WORD_1 src1_sel:DWORD
	v_fma_f16 v1, v53, v8, v1
	v_fma_f16 v0, v53, v0, -v2
	v_pack_b32_f16 v0, v1, v0
	v_add_u32_e32 v16, 0x400, v41
	ds_write2_b32 v16, v4, v0 offset0:152 offset1:254
	s_movk_i32 s6, 0x3b76
	s_movk_i32 s1, 0x3722
	;; [unrolled: 1-line block ×3, first 2 shown]
	s_mov_b32 s7, 0xb8d2
	s_mov_b32 s12, 0xbacd
	s_waitcnt vmcnt(19)
	v_lshrrev_b32_e32 v0, 16, v6
	v_mul_f16_sdwa v1, v52, v0 dst_sel:DWORD dst_unused:UNUSED_PAD src0_sel:WORD_1 src1_sel:DWORD
	v_mul_f16_sdwa v2, v52, v6 dst_sel:DWORD dst_unused:UNUSED_PAD src0_sel:WORD_1 src1_sel:DWORD
	v_fma_f16 v1, v52, v6, v1
	v_fma_f16 v0, v52, v0, -v2
	v_pack_b32_f16 v0, v1, v0
	s_waitcnt vmcnt(18)
	v_lshrrev_b32_e32 v1, 16, v9
	v_mul_f16_sdwa v2, v51, v1 dst_sel:DWORD dst_unused:UNUSED_PAD src0_sel:WORD_1 src1_sel:DWORD
	v_mul_f16_sdwa v3, v51, v9 dst_sel:DWORD dst_unused:UNUSED_PAD src0_sel:WORD_1 src1_sel:DWORD
	v_fma_f16 v2, v51, v9, v2
	v_fma_f16 v1, v51, v1, -v3
	v_pack_b32_f16 v1, v2, v1
	ds_write2_b32 v17, v0, v1 offset0:100 offset1:202
	s_waitcnt vmcnt(17)
	v_lshrrev_b32_e32 v0, 16, v10
	s_waitcnt vmcnt(16)
	v_mul_f16_sdwa v1, v50, v0 dst_sel:DWORD dst_unused:UNUSED_PAD src0_sel:WORD_1 src1_sel:DWORD
	v_mul_f16_sdwa v2, v50, v10 dst_sel:DWORD dst_unused:UNUSED_PAD src0_sel:WORD_1 src1_sel:DWORD
	v_fma_f16 v1, v50, v10, v1
	v_fma_f16 v0, v50, v0, -v2
	v_pack_b32_f16 v0, v1, v0
	s_waitcnt vmcnt(15)
	v_lshrrev_b32_e32 v1, 16, v11
	s_waitcnt vmcnt(14)
	v_mul_f16_sdwa v2, v49, v1 dst_sel:DWORD dst_unused:UNUSED_PAD src0_sel:WORD_1 src1_sel:DWORD
	v_mul_f16_sdwa v3, v49, v11 dst_sel:DWORD dst_unused:UNUSED_PAD src0_sel:WORD_1 src1_sel:DWORD
	v_fma_f16 v2, v49, v11, v2
	v_fma_f16 v1, v49, v1, -v3
	v_pack_b32_f16 v1, v2, v1
	ds_write2_b32 v18, v0, v1 offset0:48 offset1:150
	s_waitcnt vmcnt(13)
	v_lshrrev_b32_e32 v0, 16, v12
	s_waitcnt vmcnt(12)
	v_mul_f16_sdwa v1, v48, v0 dst_sel:DWORD dst_unused:UNUSED_PAD src0_sel:WORD_1 src1_sel:DWORD
	v_mul_f16_sdwa v2, v48, v12 dst_sel:DWORD dst_unused:UNUSED_PAD src0_sel:WORD_1 src1_sel:DWORD
	v_fma_f16 v1, v48, v12, v1
	v_fma_f16 v0, v48, v0, -v2
	v_pack_b32_f16 v0, v1, v0
	s_waitcnt vmcnt(11)
	v_lshrrev_b32_e32 v1, 16, v13
	s_waitcnt vmcnt(10)
	;; [unrolled: 17-line block ×4, first 2 shown]
	v_mul_f16_sdwa v2, v43, v1 dst_sel:DWORD dst_unused:UNUSED_PAD src0_sel:WORD_1 src1_sel:DWORD
	v_mul_f16_sdwa v3, v43, v20 dst_sel:DWORD dst_unused:UNUSED_PAD src0_sel:WORD_1 src1_sel:DWORD
	v_fma_f16 v2, v43, v20, v2
	v_fma_f16 v1, v43, v1, -v3
	v_pack_b32_f16 v1, v2, v1
	v_add_u32_e32 v20, 0x1400, v41
	ds_write2_b32 v20, v0, v1 offset0:148 offset1:250
	s_waitcnt vmcnt(1)
	v_lshrrev_b32_e32 v0, 16, v5
	s_waitcnt vmcnt(0)
	v_mul_f16_sdwa v1, v42, v0 dst_sel:DWORD dst_unused:UNUSED_PAD src0_sel:WORD_1 src1_sel:DWORD
	v_mul_f16_sdwa v2, v42, v5 dst_sel:DWORD dst_unused:UNUSED_PAD src0_sel:WORD_1 src1_sel:DWORD
	v_fma_f16 v1, v42, v5, v1
	v_fma_f16 v0, v42, v0, -v2
	v_pack_b32_f16 v0, v1, v0
	ds_write_b32 v41, v0 offset:6528
	s_waitcnt lgkmcnt(0)
	s_barrier
	ds_read2_b32 v[6:7], v41 offset1:102
	ds_read2_b32 v[8:9], v19 offset0:76 offset1:178
	ds_read2_b32 v[10:11], v16 offset0:152 offset1:254
	;; [unrolled: 1-line block ×7, first 2 shown]
	ds_read_b32 v23, v41 offset:6528
	s_waitcnt lgkmcnt(8)
	v_add_f16_e32 v24, v6, v7
	v_add_f16_sdwa v25, v6, v7 dst_sel:DWORD dst_unused:UNUSED_PAD src0_sel:WORD_1 src1_sel:WORD_1
	s_waitcnt lgkmcnt(7)
	v_add_f16_e32 v24, v24, v8
	v_add_f16_sdwa v25, v25, v8 dst_sel:DWORD dst_unused:UNUSED_PAD src0_sel:DWORD src1_sel:WORD_1
	v_add_f16_e32 v24, v24, v9
	v_add_f16_sdwa v25, v25, v9 dst_sel:DWORD dst_unused:UNUSED_PAD src0_sel:DWORD src1_sel:WORD_1
	s_waitcnt lgkmcnt(6)
	v_add_f16_e32 v24, v24, v10
	v_add_f16_sdwa v25, v25, v10 dst_sel:DWORD dst_unused:UNUSED_PAD src0_sel:DWORD src1_sel:WORD_1
	v_add_f16_e32 v24, v24, v11
	v_add_f16_sdwa v25, v25, v11 dst_sel:DWORD dst_unused:UNUSED_PAD src0_sel:DWORD src1_sel:WORD_1
	;; [unrolled: 5-line block ×6, first 2 shown]
	s_waitcnt lgkmcnt(1)
	v_add_f16_e32 v24, v24, v14
	v_add_f16_sdwa v25, v25, v14 dst_sel:DWORD dst_unused:UNUSED_PAD src0_sel:DWORD src1_sel:WORD_1
	s_waitcnt lgkmcnt(0)
	v_sub_f16_sdwa v27, v7, v23 dst_sel:DWORD dst_unused:UNUSED_PAD src0_sel:WORD_1 src1_sel:WORD_1
	v_add_f16_e32 v24, v24, v15
	v_add_f16_sdwa v25, v25, v15 dst_sel:DWORD dst_unused:UNUSED_PAD src0_sel:DWORD src1_sel:WORD_1
	v_add_f16_e32 v26, v23, v7
	v_mul_f16_e32 v29, 0xb5c8, v27
	v_mul_f16_e32 v31, 0xb964, v27
	;; [unrolled: 1-line block ×6, first 2 shown]
	v_add_f16_e32 v61, v15, v8
	v_add_f16_sdwa v62, v15, v8 dst_sel:DWORD dst_unused:UNUSED_PAD src0_sel:WORD_1 src1_sel:WORD_1
	v_sub_f16_e32 v63, v8, v15
	v_sub_f16_sdwa v8, v8, v15 dst_sel:DWORD dst_unused:UNUSED_PAD src0_sel:WORD_1 src1_sel:WORD_1
	v_add_f16_e32 v15, v14, v9
	v_add_f16_sdwa v64, v14, v9 dst_sel:DWORD dst_unused:UNUSED_PAD src0_sel:WORD_1 src1_sel:WORD_1
	v_sub_f16_e32 v65, v9, v14
	v_sub_f16_sdwa v9, v9, v14 dst_sel:DWORD dst_unused:UNUSED_PAD src0_sel:WORD_1 src1_sel:WORD_1
	v_add_f16_e32 v14, v13, v10
	v_add_f16_sdwa v66, v13, v10 dst_sel:DWORD dst_unused:UNUSED_PAD src0_sel:WORD_1 src1_sel:WORD_1
	v_sub_f16_e32 v67, v10, v13
	v_sub_f16_sdwa v10, v10, v13 dst_sel:DWORD dst_unused:UNUSED_PAD src0_sel:WORD_1 src1_sel:WORD_1
	v_add_f16_e32 v68, v12, v11
	v_add_f16_sdwa v69, v12, v11 dst_sel:DWORD dst_unused:UNUSED_PAD src0_sel:WORD_1 src1_sel:WORD_1
	v_sub_f16_e32 v70, v11, v12
	v_sub_f16_sdwa v71, v11, v12 dst_sel:DWORD dst_unused:UNUSED_PAD src0_sel:WORD_1 src1_sel:WORD_1
	v_mul_f16_e32 v11, 0xb836, v27
	v_mul_f16_e32 v13, 0xb1e1, v27
	v_fma_f16 v30, v26, s6, -v29
	v_fma_f16 v29, v26, s6, v29
	v_fma_f16 v32, v26, s2, -v31
	v_fma_f16 v31, v26, s2, v31
	;; [unrolled: 2-line block ×8, first 2 shown]
	v_add_f16_sdwa v26, v23, v7 dst_sel:DWORD dst_unused:UNUSED_PAD src0_sel:WORD_1 src1_sel:WORD_1
	v_sub_f16_e32 v7, v7, v23
	v_mul_f16_e32 v72, 0xb5c8, v7
	v_mul_f16_e32 v74, 0xb964, v7
	v_mul_f16_e32 v76, 0xbb29, v7
	v_mul_f16_e32 v78, 0xbbf7, v7
	v_mul_f16_e32 v80, 0xbbb2, v7
	v_mul_f16_e32 v82, 0xba62, v7
	v_mul_f16_e32 v84, 0xb836, v7
	v_mul_f16_e32 v7, 0xb1e1, v7
	v_fma_f16 v73, v26, s6, v72
	v_fma_f16 v72, v26, s6, -v72
	v_fma_f16 v75, v26, s2, v74
	v_fma_f16 v74, v26, s2, -v74
	;; [unrolled: 2-line block ×8, first 2 shown]
	v_add_f16_e32 v26, v6, v30
	v_add_f16_sdwa v30, v6, v73 dst_sel:DWORD dst_unused:UNUSED_PAD src0_sel:WORD_1 src1_sel:DWORD
	v_add_f16_e32 v29, v6, v29
	v_add_f16_sdwa v72, v6, v72 dst_sel:DWORD dst_unused:UNUSED_PAD src0_sel:WORD_1 src1_sel:DWORD
	;; [unrolled: 2-line block ×16, first 2 shown]
	v_add_f16_e32 v6, v24, v23
	v_add_f16_sdwa v7, v25, v23 dst_sel:DWORD dst_unused:UNUSED_PAD src0_sel:DWORD src1_sel:WORD_1
	v_mul_f16_e32 v23, 0xb964, v8
	v_fma_f16 v24, v61, s2, -v23
	v_mul_f16_e32 v25, 0xb964, v63
	v_fma_f16 v23, v61, s2, v23
	v_add_f16_e32 v24, v24, v26
	v_fma_f16 v26, v62, s2, v25
	v_add_f16_e32 v23, v23, v29
	v_mul_f16_e32 v29, 0xbbf7, v8
	v_add_f16_e32 v26, v26, v30
	v_fma_f16 v30, v61, s0, -v29
	v_fma_f16 v25, v62, s2, -v25
	v_add_f16_e32 v30, v30, v32
	v_mul_f16_e32 v32, 0xbbf7, v63
	v_fma_f16 v29, v61, s0, v29
	v_add_f16_e32 v25, v25, v72
	v_fma_f16 v72, v62, s0, v32
	v_add_f16_e32 v29, v29, v31
	v_fma_f16 v31, v62, s0, -v32
	v_mul_f16_e32 v32, 0xba62, v8
	v_add_f16_e32 v72, v72, v73
	v_fma_f16 v73, v61, s7, -v32
	v_add_f16_e32 v34, v73, v34
	v_mul_f16_e32 v73, 0xba62, v63
	v_fma_f16 v32, v61, s7, v32
	v_add_f16_e32 v31, v31, v74
	v_fma_f16 v74, v62, s7, v73
	v_add_f16_e32 v32, v32, v33
	v_fma_f16 v33, v62, s7, -v73
	v_mul_f16_e32 v73, 0xb1e1, v8
	v_add_f16_e32 v74, v74, v75
	;; [unrolled: 10-line block ×5, first 2 shown]
	v_fma_f16 v81, v61, s1, -v79
	v_add_f16_e32 v12, v81, v12
	v_mul_f16_e32 v81, 0x3b29, v63
	v_fma_f16 v79, v61, s1, v79
	v_mul_f16_e32 v8, 0x35c8, v8
	v_add_f16_e32 v77, v77, v82
	v_fma_f16 v82, v62, s1, v81
	v_add_f16_e32 v11, v79, v11
	v_fma_f16 v79, v62, s1, -v81
	v_fma_f16 v81, v61, s6, -v8
	v_mul_f16_e32 v63, 0x35c8, v63
	v_fma_f16 v8, v61, s6, v8
	v_mul_f16_e32 v61, 0xbb29, v9
	v_add_f16_e32 v27, v81, v27
	v_fma_f16 v81, v62, s6, v63
	v_add_f16_e32 v8, v8, v13
	v_fma_f16 v13, v62, s6, -v63
	v_fma_f16 v62, v15, s1, -v61
	v_add_f16_e32 v24, v62, v24
	v_mul_f16_e32 v62, 0xbb29, v65
	v_fma_f16 v61, v15, s1, v61
	v_add_f16_e32 v23, v61, v23
	v_fma_f16 v61, v64, s1, -v62
	v_add_f16_e32 v25, v61, v25
	v_mul_f16_e32 v61, 0xba62, v9
	v_fma_f16 v63, v64, s1, v62
	v_fma_f16 v62, v15, s7, -v61
	v_add_f16_e32 v30, v62, v30
	v_mul_f16_e32 v62, 0xba62, v65
	v_fma_f16 v61, v15, s7, v61
	v_add_f16_e32 v29, v61, v29
	v_fma_f16 v61, v64, s7, -v62
	v_add_f16_e32 v31, v61, v31
	v_mul_f16_e32 v61, 0x31e1, v9
	v_add_f16_e32 v26, v63, v26
	v_fma_f16 v63, v64, s7, v62
	v_fma_f16 v62, v15, s16, -v61
	v_add_f16_e32 v34, v62, v34
	v_mul_f16_e32 v62, 0x31e1, v65
	v_fma_f16 v61, v15, s16, v61
	v_add_f16_e32 v32, v61, v32
	v_fma_f16 v61, v64, s16, -v62
	v_add_f16_e32 v33, v61, v33
	v_mul_f16_e32 v61, 0x3bb2, v9
	v_add_f16_e32 v63, v63, v72
	v_fma_f16 v72, v64, s16, v62
	v_fma_f16 v62, v15, s3, -v61
	v_add_f16_e32 v36, v62, v36
	v_mul_f16_e32 v62, 0x3bb2, v65
	v_fma_f16 v61, v15, s3, v61
	v_add_f16_e32 v72, v72, v74
	v_fma_f16 v74, v64, s3, v62
	v_add_f16_e32 v35, v61, v35
	v_fma_f16 v61, v64, s3, -v62
	v_mul_f16_e32 v62, 0x3964, v9
	v_add_f16_e32 v61, v61, v73
	v_fma_f16 v73, v15, s2, -v62
	v_add_f16_e32 v38, v73, v38
	v_mul_f16_e32 v73, 0x3964, v65
	v_fma_f16 v62, v15, s2, v62
	v_add_f16_e32 v74, v74, v76
	v_fma_f16 v76, v64, s2, v73
	v_add_f16_e32 v37, v62, v37
	v_fma_f16 v62, v64, s2, -v73
	v_mul_f16_e32 v73, 0xb5c8, v9
	v_add_f16_e32 v62, v62, v75
	;; [unrolled: 10-line block ×3, first 2 shown]
	v_fma_f16 v77, v15, s0, -v75
	v_add_f16_e32 v12, v77, v12
	v_mul_f16_e32 v77, 0xbbf7, v65
	v_fma_f16 v75, v15, s0, v75
	v_mul_f16_e32 v9, 0xb836, v9
	v_add_f16_e32 v78, v78, v80
	v_fma_f16 v80, v64, s0, v77
	v_add_f16_e32 v11, v75, v11
	v_fma_f16 v75, v64, s0, -v77
	v_fma_f16 v77, v15, s12, -v9
	v_mul_f16_e32 v65, 0xb836, v65
	v_fma_f16 v9, v15, s12, v9
	v_add_f16_e32 v13, v13, v86
	v_add_f16_e32 v8, v9, v8
	v_fma_f16 v9, v64, s12, -v65
	v_add_f16_e32 v9, v9, v13
	v_mul_f16_e32 v13, 0xbbf7, v10
	v_fma_f16 v15, v14, s0, -v13
	v_add_f16_e32 v15, v15, v24
	v_mul_f16_e32 v24, 0xbbf7, v67
	v_fma_f16 v13, v14, s0, v13
	v_add_f16_e32 v27, v77, v27
	v_fma_f16 v77, v64, s12, v65
	v_fma_f16 v64, v66, s0, v24
	v_add_f16_e32 v13, v13, v23
	v_fma_f16 v23, v66, s0, -v24
	v_mul_f16_e32 v24, 0xb1e1, v10
	v_add_f16_e32 v23, v23, v25
	v_fma_f16 v25, v14, s16, -v24
	v_add_f16_e32 v25, v25, v30
	v_mul_f16_e32 v30, 0xb1e1, v67
	v_fma_f16 v24, v14, s16, v24
	v_add_f16_e32 v26, v64, v26
	v_fma_f16 v64, v66, s16, v30
	v_add_f16_e32 v24, v24, v29
	v_fma_f16 v29, v66, s16, -v30
	v_mul_f16_e32 v30, 0x3bb2, v10
	v_add_f16_e32 v29, v29, v31
	v_fma_f16 v31, v14, s3, -v30
	v_add_f16_e32 v31, v31, v34
	v_mul_f16_e32 v34, 0x3bb2, v67
	v_fma_f16 v30, v14, s3, v30
	v_add_f16_e32 v30, v30, v32
	v_fma_f16 v32, v66, s3, -v34
	v_add_f16_e32 v32, v32, v33
	v_mul_f16_e32 v33, 0x35c8, v10
	v_add_f16_e32 v63, v64, v63
	v_fma_f16 v64, v66, s3, v34
	v_fma_f16 v34, v14, s6, -v33
	v_add_f16_e32 v34, v34, v36
	v_mul_f16_e32 v36, 0x35c8, v67
	v_fma_f16 v33, v14, s6, v33
	v_fma_f16 v65, v66, s6, v36
	v_add_f16_e32 v33, v33, v35
	v_fma_f16 v35, v66, s6, -v36
	v_mul_f16_e32 v36, 0xbb29, v10
	v_add_f16_e32 v35, v35, v61
	v_fma_f16 v61, v14, s1, -v36
	v_add_f16_e32 v38, v61, v38
	v_mul_f16_e32 v61, 0xbb29, v67
	v_fma_f16 v36, v14, s1, v36
	v_add_f16_e32 v64, v64, v72
	v_fma_f16 v72, v66, s1, v61
	v_add_f16_e32 v36, v36, v37
	v_fma_f16 v37, v66, s1, -v61
	v_mul_f16_e32 v61, 0xb836, v10
	v_add_f16_e32 v37, v37, v62
	v_fma_f16 v62, v14, s12, -v61
	v_add_f16_e32 v40, v62, v40
	v_mul_f16_e32 v62, 0xb836, v67
	v_fma_f16 v61, v14, s12, v61
	v_add_f16_e32 v65, v65, v74
	v_fma_f16 v74, v66, s12, v62
	v_add_f16_e32 v39, v61, v39
	v_fma_f16 v61, v66, s12, -v62
	v_mul_f16_e32 v62, 0x3a62, v10
	v_add_f16_e32 v61, v61, v73
	v_fma_f16 v73, v14, s7, -v62
	v_add_f16_e32 v79, v79, v84
	v_add_f16_e32 v73, v73, v12
	v_mul_f16_e32 v12, 0x3a62, v67
	v_fma_f16 v62, v14, s7, v62
	v_add_f16_e32 v75, v75, v79
	v_add_f16_e32 v62, v62, v11
	v_fma_f16 v11, v66, s7, -v12
	v_mul_f16_e32 v10, 0x3964, v10
	v_add_f16_e32 v75, v11, v75
	v_fma_f16 v11, v14, s2, -v10
	v_add_f16_e32 v74, v74, v78
	v_add_f16_e32 v78, v11, v27
	v_mul_f16_e32 v11, 0x3964, v67
	v_fma_f16 v10, v14, s2, v10
	v_add_f16_e32 v79, v10, v8
	v_fma_f16 v8, v66, s2, -v11
	v_add_f16_e32 v81, v81, v85
	v_add_f16_e32 v72, v72, v76
	v_fma_f16 v76, v66, s7, v12
	v_fma_f16 v12, v66, s2, v11
	v_add_f16_e32 v66, v8, v9
	v_mul_f16_e32 v9, 0xbbb2, v71
	v_add_f16_e32 v77, v77, v81
	v_fma_f16 v8, v68, s3, -v9
	v_fma_f16 v9, v68, s3, v9
	v_mul_f16_e32 v14, 0x3836, v70
	v_add_f16_e32 v77, v12, v77
	v_mul_f16_e32 v10, 0xbbb2, v70
	v_add_f16_e32 v9, v9, v13
	v_mul_f16_e32 v13, 0x3836, v71
	v_fma_f16 v12, v69, s12, v14
	v_fma_f16 v14, v69, s12, -v14
	v_add_f16_e32 v67, v8, v15
	v_fma_f16 v8, v69, s3, v10
	v_fma_f16 v11, v68, s12, -v13
	v_fma_f16 v13, v68, s12, v13
	v_add_f16_e32 v14, v14, v29
	v_mul_f16_e32 v29, 0xbb29, v71
	v_add_f16_e32 v8, v8, v26
	v_add_f16_e32 v13, v13, v24
	v_mul_f16_e32 v24, 0x3964, v71
	v_fma_f16 v26, v68, s1, -v29
	v_fma_f16 v29, v68, s1, v29
	v_fma_f16 v10, v69, s3, -v10
	v_add_f16_e32 v11, v11, v25
	v_fma_f16 v15, v68, s2, -v24
	v_mul_f16_e32 v25, 0x3964, v70
	v_add_f16_e32 v29, v29, v33
	v_mul_f16_e32 v33, 0xb1e1, v71
	v_add_f16_e32 v10, v10, v23
	v_add_f16_e32 v15, v15, v31
	v_fma_f16 v23, v69, s2, v25
	v_fma_f16 v24, v68, s2, v24
	v_fma_f16 v25, v69, s2, -v25
	v_add_f16_e32 v26, v26, v34
	v_fma_f16 v31, v68, s16, -v33
	v_mul_f16_e32 v34, 0xb1e1, v70
	v_add_f16_e32 v24, v24, v30
	v_add_f16_e32 v25, v25, v32
	v_mul_f16_e32 v30, 0xbb29, v70
	v_add_f16_e32 v31, v31, v38
	v_fma_f16 v32, v69, s16, v34
	v_fma_f16 v33, v68, s16, v33
	v_fma_f16 v34, v69, s16, -v34
	v_mul_f16_e32 v38, 0x3bf7, v70
	v_fma_f16 v27, v69, s1, v30
	v_fma_f16 v30, v69, s1, -v30
	v_add_f16_e32 v33, v33, v36
	v_add_f16_e32 v34, v34, v37
	v_mul_f16_e32 v37, 0x3bf7, v71
	v_fma_f16 v36, v69, s0, v38
	v_fma_f16 v38, v69, s0, -v38
	v_add_f16_e32 v30, v30, v35
	v_fma_f16 v35, v68, s0, -v37
	v_fma_f16 v37, v68, s0, v37
	v_add_f16_e32 v38, v38, v61
	v_mul_f16_e32 v61, 0xb5c8, v71
	v_add_f16_e32 v12, v12, v63
	v_add_f16_e32 v27, v27, v65
	;; [unrolled: 1-line block ×3, first 2 shown]
	v_fma_f16 v39, v68, s6, -v61
	v_mul_f16_e32 v63, 0xb5c8, v70
	v_fma_f16 v61, v68, s6, v61
	v_mul_f16_e32 v65, 0xba62, v71
	v_mul_f16_e32 v70, 0xba62, v70
	v_add_f16_e32 v23, v23, v64
	v_add_f16_e32 v35, v35, v40
	v_fma_f16 v40, v69, s6, v63
	v_add_f16_e32 v61, v61, v62
	v_fma_f16 v62, v69, s6, -v63
	v_fma_f16 v63, v68, s7, -v65
	v_fma_f16 v64, v69, s7, v70
	v_fma_f16 v65, v68, s7, v65
	v_fma_f16 v68, v69, s7, -v70
	v_sub_f16_sdwa v69, v2, v5 dst_sel:DWORD dst_unused:UNUSED_PAD src0_sel:WORD_1 src1_sel:WORD_1
	v_add_f16_e32 v66, v68, v66
	v_add_f16_e32 v68, v5, v2
	v_mul_f16_e32 v70, 0xba62, v69
	v_fma_f16 v71, v68, s7, -v70
	v_add_f16_e32 v67, v71, v67
	v_add_f16_sdwa v71, v5, v2 dst_sel:DWORD dst_unused:UNUSED_PAD src0_sel:WORD_1 src1_sel:WORD_1
	v_sub_f16_e32 v2, v2, v5
	v_mul_f16_e32 v5, 0xba62, v2
	v_add_f16_e32 v32, v32, v72
	v_fma_f16 v72, v71, s7, v5
	v_fma_f16 v5, v71, s7, -v5
	v_fma_f16 v70, v68, s7, v70
	v_add_f16_e32 v5, v5, v10
	v_mul_f16_e32 v10, 0x3bb2, v69
	v_add_f16_e32 v9, v70, v9
	v_fma_f16 v70, v68, s3, -v10
	v_add_f16_e32 v11, v70, v11
	v_mul_f16_e32 v70, 0x3bb2, v2
	v_fma_f16 v10, v68, s3, v10
	v_add_f16_e32 v10, v10, v13
	v_fma_f16 v13, v71, s3, -v70
	v_add_f16_e32 v13, v13, v14
	v_mul_f16_e32 v14, 0xb5c8, v69
	v_add_f16_e32 v8, v72, v8
	v_fma_f16 v72, v71, s3, v70
	v_fma_f16 v70, v68, s6, -v14
	v_add_f16_e32 v15, v70, v15
	v_mul_f16_e32 v70, 0xb5c8, v2
	v_fma_f16 v14, v68, s6, v14
	v_add_f16_e32 v14, v14, v24
	v_fma_f16 v24, v71, s6, -v70
	v_add_f16_e32 v24, v24, v25
	v_mul_f16_e32 v25, 0xb836, v69
	v_add_f16_e32 v12, v72, v12
	v_fma_f16 v72, v71, s6, v70
	;; [unrolled: 10-line block ×4, first 2 shown]
	v_fma_f16 v70, v68, s2, -v34
	v_add_f16_e32 v35, v70, v35
	v_mul_f16_e32 v70, 0xb964, v2
	v_fma_f16 v34, v68, s2, v34
	v_add_f16_e32 v34, v34, v37
	v_fma_f16 v37, v71, s2, -v70
	v_add_f16_e32 v37, v37, v38
	v_mul_f16_e32 v38, 0xb1e1, v69
	v_add_f16_e32 v39, v39, v73
	v_add_f16_e32 v32, v72, v32
	v_fma_f16 v72, v71, s2, v70
	v_fma_f16 v70, v68, s16, -v38
	v_add_f16_e32 v39, v70, v39
	v_mul_f16_e32 v70, 0xb1e1, v2
	v_fma_f16 v38, v68, s16, v38
	v_add_f16_e32 v62, v62, v75
	v_add_f16_e32 v38, v38, v61
	v_fma_f16 v61, v71, s16, -v70
	v_add_f16_e32 v61, v61, v62
	v_mul_f16_e32 v62, 0x3b29, v69
	v_add_f16_e32 v63, v63, v78
	v_fma_f16 v69, v68, s1, -v62
	v_mul_f16_e32 v2, 0x3b29, v2
	v_add_f16_e32 v65, v65, v79
	v_add_f16_e32 v63, v69, v63
	v_fma_f16 v69, v71, s1, v2
	v_fma_f16 v62, v68, s1, v62
	v_fma_f16 v2, v71, s1, -v2
	v_add_f16_e32 v62, v62, v65
	v_add_f16_e32 v2, v2, v66
	;; [unrolled: 1-line block ×3, first 2 shown]
	v_add_f16_sdwa v66, v4, v3 dst_sel:DWORD dst_unused:UNUSED_PAD src0_sel:WORD_1 src1_sel:WORD_1
	v_sub_f16_e32 v68, v3, v4
	v_sub_f16_sdwa v3, v3, v4 dst_sel:DWORD dst_unused:UNUSED_PAD src0_sel:WORD_1 src1_sel:WORD_1
	v_add_f16_e32 v64, v64, v77
	v_mul_f16_e32 v4, 0xb836, v3
	v_add_f16_e32 v64, v69, v64
	v_fma_f16 v69, v65, s12, -v4
	v_add_f16_e32 v67, v69, v67
	v_mul_f16_e32 v69, 0xb836, v68
	v_fma_f16 v4, v65, s12, v4
	v_add_f16_e32 v4, v4, v9
	v_fma_f16 v9, v66, s12, -v69
	v_add_f16_e32 v36, v36, v74
	v_add_f16_e32 v5, v9, v5
	v_mul_f16_e32 v9, 0x3b29, v3
	v_add_f16_e32 v36, v72, v36
	v_fma_f16 v72, v71, s16, v70
	v_fma_f16 v70, v66, s12, v69
	v_fma_f16 v69, v65, s1, -v9
	v_add_f16_e32 v11, v69, v11
	v_mul_f16_e32 v69, 0x3b29, v68
	v_fma_f16 v9, v65, s1, v9
	v_add_f16_e32 v9, v9, v10
	v_fma_f16 v10, v66, s1, -v69
	v_add_f16_e32 v10, v10, v13
	v_mul_f16_e32 v13, 0xbbf7, v3
	v_add_f16_e32 v8, v70, v8
	v_fma_f16 v70, v66, s1, v69
	v_fma_f16 v69, v65, s0, -v13
	v_add_f16_e32 v15, v69, v15
	v_mul_f16_e32 v69, 0xbbf7, v68
	v_fma_f16 v13, v65, s0, v13
	v_add_f16_e32 v13, v13, v14
	v_fma_f16 v14, v66, s0, -v69
	v_add_f16_e32 v14, v14, v24
	v_mul_f16_e32 v24, 0x3a62, v3
	v_add_f16_e32 v12, v70, v12
	;; [unrolled: 10-line block ×5, first 2 shown]
	v_fma_f16 v70, v66, s16, v69
	v_fma_f16 v69, v65, s2, -v37
	v_add_f16_e32 v39, v69, v39
	v_mul_f16_e32 v69, 0x3964, v68
	v_fma_f16 v37, v65, s2, v37
	v_add_f16_e32 v37, v37, v38
	v_fma_f16 v38, v66, s2, -v69
	v_mul_f16_e32 v3, 0xbbb2, v3
	v_add_f16_e32 v38, v38, v61
	v_fma_f16 v61, v65, s3, -v3
	v_add_f16_e32 v61, v61, v63
	v_mul_f16_e32 v63, 0xbbb2, v68
	v_add_f16_e32 v82, v82, v83
	v_add_f16_e32 v36, v70, v36
	v_fma_f16 v70, v66, s2, v69
	v_fma_f16 v68, v66, s3, v63
	;; [unrolled: 1-line block ×3, first 2 shown]
	v_sub_f16_sdwa v69, v0, v1 dst_sel:DWORD dst_unused:UNUSED_PAD src0_sel:WORD_1 src1_sel:WORD_1
	v_add_f16_e32 v80, v80, v82
	v_add_f16_e32 v64, v68, v64
	;; [unrolled: 1-line block ×3, first 2 shown]
	v_fma_f16 v3, v66, s3, -v63
	v_add_f16_e32 v65, v1, v0
	v_add_f16_sdwa v66, v1, v0 dst_sel:DWORD dst_unused:UNUSED_PAD src0_sel:WORD_1 src1_sel:WORD_1
	v_sub_f16_e32 v68, v0, v1
	v_mul_f16_e32 v0, 0xb1e1, v69
	v_add_f16_e32 v76, v76, v80
	v_fma_f16 v1, v65, s16, -v0
	v_add_f16_e32 v40, v40, v76
	v_add_f16_e32 v67, v1, v67
	v_mul_f16_e32 v1, 0xb1e1, v68
	v_add_f16_e32 v40, v72, v40
	v_add_f16_e32 v63, v3, v2
	v_fma_f16 v2, v66, s16, v1
	v_add_f16_e32 v40, v70, v40
	v_add_f16_e32 v70, v2, v8
	v_mul_f16_e32 v2, 0x35c8, v69
	v_fma_f16 v3, v65, s6, -v2
	v_fma_f16 v0, v65, s16, v0
	v_add_f16_e32 v71, v3, v11
	v_mul_f16_e32 v3, 0x35c8, v68
	v_add_f16_e32 v0, v0, v4
	v_fma_f16 v4, v66, s6, v3
	v_fma_f16 v1, v66, s16, -v1
	v_add_f16_e32 v72, v4, v12
	v_mul_f16_e32 v4, 0xb836, v69
	v_add_f16_e32 v1, v1, v5
	v_fma_f16 v5, v65, s12, -v4
	v_add_f16_e32 v73, v5, v15
	v_mul_f16_e32 v5, 0xb836, v68
	v_fma_f16 v8, v66, s12, v5
	v_fma_f16 v2, v65, s6, v2
	v_add_f16_e32 v23, v8, v23
	v_mul_f16_e32 v8, 0x3964, v69
	v_add_f16_e32 v2, v2, v9
	v_fma_f16 v9, v65, s2, -v8
	v_fma_f16 v3, v66, s6, -v3
	v_add_f16_e32 v26, v9, v26
	v_mul_f16_e32 v9, 0x3964, v68
	v_add_f16_e32 v3, v3, v10
	v_fma_f16 v10, v66, s2, v9
	v_add_f16_e32 v27, v10, v27
	v_mul_f16_e32 v10, 0xba62, v69
	v_fma_f16 v8, v65, s2, v8
	v_fma_f16 v11, v65, s7, -v10
	v_add_f16_e32 v8, v8, v24
	v_add_f16_e32 v24, v11, v31
	v_mul_f16_e32 v11, 0xba62, v68
	v_fma_f16 v9, v66, s2, -v9
	v_fma_f16 v12, v66, s7, v11
	v_fma_f16 v4, v65, s12, v4
	v_add_f16_e32 v9, v9, v25
	v_add_f16_e32 v25, v12, v32
	v_mul_f16_e32 v12, 0x3b29, v69
	v_add_f16_e32 v4, v4, v13
	v_fma_f16 v10, v65, s7, v10
	v_fma_f16 v13, v65, s1, -v12
	v_fma_f16 v5, v66, s12, -v5
	v_add_f16_e32 v10, v10, v29
	v_add_f16_e32 v29, v13, v35
	v_mul_f16_e32 v13, 0x3b29, v68
	v_add_f16_e32 v5, v5, v14
	v_fma_f16 v11, v66, s7, -v11
	v_fma_f16 v14, v66, s1, v13
	v_add_f16_e32 v11, v11, v30
	v_add_f16_e32 v30, v14, v36
	v_fma_f16 v12, v65, s1, v12
	v_mul_f16_e32 v14, 0xbbb2, v69
	v_add_f16_e32 v12, v12, v33
	v_fma_f16 v13, v66, s1, -v13
	v_fma_f16 v15, v65, s3, -v14
	v_fma_f16 v14, v65, s3, v14
	v_mul_f16_e32 v33, 0x3bf7, v69
	v_add_f16_e32 v13, v13, v34
	v_add_f16_e32 v14, v14, v37
	v_fma_f16 v34, v65, s0, -v33
	v_mul_lo_u16_e32 v37, 17, v57
	v_add_f16_e32 v31, v15, v39
	v_mul_f16_e32 v15, 0xbbb2, v68
	v_add_f16_e32 v34, v34, v61
	v_lshlrev_b32_e32 v61, 2, v37
	v_pack_b32_f16 v37, v67, v70
	v_pack_b32_f16 v6, v6, v7
	;; [unrolled: 1-line block ×3, first 2 shown]
	v_fma_f16 v32, v66, s3, v15
	v_mul_f16_e32 v35, 0x3bf7, v68
	s_barrier
	ds_write2_b32 v61, v6, v37 offset1:1
	v_pack_b32_f16 v6, v73, v23
	v_pack_b32_f16 v7, v71, v72
	ds_write_b32 v61, v0 offset:64
	v_mul_lo_u16_sdwa v0, v57, s17 dst_sel:DWORD dst_unused:UNUSED_PAD src0_sel:BYTE_0 src1_sel:DWORD
	v_add_f16_e32 v32, v32, v40
	v_fma_f16 v36, v66, s0, v35
	v_fma_f16 v33, v65, s0, v33
	v_fma_f16 v35, v66, s0, -v35
	ds_write2_b32 v61, v7, v6 offset0:2 offset1:3
	v_pack_b32_f16 v6, v24, v25
	v_pack_b32_f16 v7, v26, v27
	v_lshrrev_b16_e32 v23, 12, v0
	v_fma_f16 v15, v66, s3, -v15
	v_add_f16_e32 v36, v36, v64
	v_add_f16_e32 v33, v33, v62
	v_add_f16_e32 v35, v35, v63
	ds_write2_b32 v61, v7, v6 offset0:4 offset1:5
	v_pack_b32_f16 v6, v31, v32
	v_pack_b32_f16 v7, v29, v30
	v_mul_lo_u16_e32 v0, 17, v23
	v_add_f16_e32 v15, v15, v38
	ds_write2_b32 v61, v7, v6 offset0:6 offset1:7
	v_pack_b32_f16 v6, v33, v35
	v_pack_b32_f16 v7, v34, v36
	v_sub_u16_e32 v0, v57, v0
	ds_write2_b32 v61, v7, v6 offset0:8 offset1:9
	v_pack_b32_f16 v6, v12, v13
	v_pack_b32_f16 v7, v14, v15
	v_and_b32_e32 v24, 0xff, v0
	ds_write2_b32 v61, v7, v6 offset0:10 offset1:11
	v_pack_b32_f16 v6, v8, v9
	v_pack_b32_f16 v7, v10, v11
	;; [unrolled: 1-line block ×4, first 2 shown]
	v_lshlrev_b32_e32 v12, 6, v24
	ds_write2_b32 v61, v7, v6 offset0:12 offset1:13
	ds_write2_b32 v61, v3, v2 offset0:14 offset1:15
	s_waitcnt lgkmcnt(0)
	s_barrier
	global_load_dwordx4 v[0:3], v12, s[14:15]
	global_load_dwordx4 v[4:7], v12, s[14:15] offset:48
	ds_read2_b32 v[62:63], v41 offset1:102
	ds_read_b32 v25, v41 offset:6528
	global_load_dwordx4 v[8:11], v12, s[14:15] offset:16
	v_mul_u32_u24_e32 v23, 0x121, v23
	s_waitcnt lgkmcnt(1)
	v_lshrrev_b32_e32 v13, 16, v63
	s_waitcnt lgkmcnt(0)
	v_lshrrev_b32_e32 v26, 16, v25
	s_waitcnt vmcnt(2)
	v_mul_f16_sdwa v14, v13, v0 dst_sel:DWORD dst_unused:UNUSED_PAD src0_sel:DWORD src1_sel:WORD_1
	v_fma_f16 v27, v63, v0, -v14
	v_mul_f16_sdwa v14, v63, v0 dst_sel:DWORD dst_unused:UNUSED_PAD src0_sel:DWORD src1_sel:WORD_1
	v_fma_f16 v29, v13, v0, v14
	global_load_dwordx4 v[12:15], v12, s[14:15] offset:32
	s_waitcnt vmcnt(2)
	v_mul_f16_sdwa v30, v26, v7 dst_sel:DWORD dst_unused:UNUSED_PAD src0_sel:DWORD src1_sel:WORD_1
	v_fma_f16 v83, v25, v7, -v30
	v_mul_f16_sdwa v25, v25, v7 dst_sel:DWORD dst_unused:UNUSED_PAD src0_sel:DWORD src1_sel:WORD_1
	v_fma_f16 v84, v26, v7, v25
	v_sub_f16_e32 v31, v29, v84
	v_add_f16_e32 v25, v27, v83
	v_mul_f16_e32 v66, 0xbbf7, v31
	v_fma_f16 v77, v25, s0, -v66
	v_fma_f16 v78, v25, s0, v66
	v_mul_f16_e32 v66, 0xbbb2, v31
	v_fma_f16 v79, v25, s3, -v66
	v_fma_f16 v80, v25, s3, v66
	v_mul_f16_e32 v66, 0xba62, v31
	v_sub_f16_e32 v30, v27, v83
	v_fma_f16 v81, v25, s7, -v66
	v_fma_f16 v82, v25, s7, v66
	v_mul_f16_e32 v66, 0xb836, v31
	v_add_f16_e32 v26, v29, v84
	v_fma_f16 v85, v25, s12, -v66
	v_fma_f16 v86, v25, s12, v66
	v_mul_f16_e32 v66, 0xbbb2, v30
	v_mul_f16_e32 v64, 0xbb29, v30
	v_fma_f16 v89, v26, s3, v66
	v_fma_f16 v90, v26, s3, -v66
	v_mul_f16_e32 v66, 0xba62, v30
	v_mul_f16_e32 v32, 0xb5c8, v31
	;; [unrolled: 1-line block ×4, first 2 shown]
	v_fma_f16 v65, v26, s1, v64
	v_fma_f16 v64, v26, s1, -v64
	v_mul_f16_e32 v67, 0xbbf7, v30
	v_mul_f16_e32 v31, 0xb1e1, v31
	v_fma_f16 v91, v26, s7, v66
	v_fma_f16 v92, v26, s7, -v66
	v_mul_f16_e32 v66, 0xb836, v30
	v_fma_f16 v33, v25, s6, -v32
	v_fma_f16 v32, v25, s6, v32
	v_fma_f16 v37, v25, s2, -v36
	v_fma_f16 v36, v25, s2, v36
	;; [unrolled: 2-line block ×4, first 2 shown]
	v_fma_f16 v31, v26, s0, v67
	v_fma_f16 v88, v26, s0, -v67
	v_fma_f16 v93, v26, s12, v66
	v_fma_f16 v94, v26, s12, -v66
	v_add_f16_sdwa v67, v62, v64 dst_sel:DWORD dst_unused:UNUSED_PAD src0_sel:WORD_1 src1_sel:DWORD
	v_add_f16_e32 v66, v62, v77
	v_add_f16_e32 v64, v62, v78
	ds_read2_b32 v[77:78], v19 offset0:76 offset1:178
	v_mul_f16_e32 v34, 0xb5c8, v30
	v_mul_f16_e32 v38, 0xb964, v30
	v_mul_f16_e32 v30, 0xb1e1, v30
	v_fma_f16 v35, v26, s6, v34
	v_fma_f16 v34, v26, s6, -v34
	v_fma_f16 v39, v26, s2, v38
	v_fma_f16 v38, v26, s2, -v38
	;; [unrolled: 2-line block ×3, first 2 shown]
	v_add_f16_e32 v99, v62, v27
	v_add_f16_sdwa v100, v62, v29 dst_sel:DWORD dst_unused:UNUSED_PAD src0_sel:WORD_1 src1_sel:DWORD
	v_add_f16_e32 v101, v62, v33
	v_add_f16_sdwa v106, v62, v35 dst_sel:DWORD dst_unused:UNUSED_PAD src0_sel:WORD_1 src1_sel:DWORD
	v_add_f16_e32 v76, v62, v32
	v_add_f16_sdwa v75, v62, v34 dst_sel:DWORD dst_unused:UNUSED_PAD src0_sel:WORD_1 src1_sel:DWORD
	v_add_f16_e32 v74, v62, v37
	v_add_f16_sdwa v73, v62, v39 dst_sel:DWORD dst_unused:UNUSED_PAD src0_sel:WORD_1 src1_sel:DWORD
	v_add_f16_e32 v72, v62, v36
	v_add_f16_sdwa v71, v62, v38 dst_sel:DWORD dst_unused:UNUSED_PAD src0_sel:WORD_1 src1_sel:DWORD
	v_add_f16_e32 v70, v62, v63
	v_add_f16_sdwa v69, v62, v65 dst_sel:DWORD dst_unused:UNUSED_PAD src0_sel:WORD_1 src1_sel:DWORD
	v_add_f16_e32 v68, v62, v40
	v_add_f16_sdwa v65, v62, v31 dst_sel:DWORD dst_unused:UNUSED_PAD src0_sel:WORD_1 src1_sel:DWORD
	v_add_f16_sdwa v63, v62, v88 dst_sel:DWORD dst_unused:UNUSED_PAD src0_sel:WORD_1 src1_sel:DWORD
	v_add_f16_e32 v40, v62, v79
	v_add_f16_sdwa v39, v62, v89 dst_sel:DWORD dst_unused:UNUSED_PAD src0_sel:WORD_1 src1_sel:DWORD
	v_add_f16_e32 v38, v62, v80
	;; [unrolled: 2-line block ×8, first 2 shown]
	v_add_f16_sdwa v19, v62, v96 dst_sel:DWORD dst_unused:UNUSED_PAD src0_sel:WORD_1 src1_sel:DWORD
	s_waitcnt lgkmcnt(0)
	v_lshrrev_b32_e32 v62, 16, v77
	v_mul_f16_sdwa v79, v77, v1 dst_sel:DWORD dst_unused:UNUSED_PAD src0_sel:DWORD src1_sel:WORD_1
	v_fma_f16 v85, v62, v1, v79
	ds_read2_b32 v[79:80], v16 offset0:152 offset1:254
	v_mul_f16_sdwa v62, v62, v1 dst_sel:DWORD dst_unused:UNUSED_PAD src0_sel:DWORD src1_sel:WORD_1
	v_fma_f16 v86, v77, v1, -v62
	v_lshrrev_b32_e32 v62, 16, v78
	v_mul_f16_sdwa v77, v62, v2 dst_sel:DWORD dst_unused:UNUSED_PAD src0_sel:DWORD src1_sel:WORD_1
	v_fma_f16 v87, v78, v2, -v77
	v_mul_f16_sdwa v77, v78, v2 dst_sel:DWORD dst_unused:UNUSED_PAD src0_sel:DWORD src1_sel:WORD_1
	v_fma_f16 v88, v62, v2, v77
	s_waitcnt lgkmcnt(0)
	v_lshrrev_b32_e32 v62, 16, v79
	v_mul_f16_sdwa v77, v79, v3 dst_sel:DWORD dst_unused:UNUSED_PAD src0_sel:DWORD src1_sel:WORD_1
	v_fma_f16 v94, v62, v3, v77
	ds_read2_b32 v[77:78], v17 offset0:100 offset1:202
	v_mul_f16_sdwa v62, v62, v3 dst_sel:DWORD dst_unused:UNUSED_PAD src0_sel:DWORD src1_sel:WORD_1
	v_fma_f16 v92, v79, v3, -v62
	v_lshrrev_b32_e32 v62, 16, v80
	s_waitcnt vmcnt(1)
	v_mul_f16_sdwa v79, v62, v8 dst_sel:DWORD dst_unused:UNUSED_PAD src0_sel:DWORD src1_sel:WORD_1
	v_fma_f16 v102, v80, v8, -v79
	v_mul_f16_sdwa v79, v80, v8 dst_sel:DWORD dst_unused:UNUSED_PAD src0_sel:DWORD src1_sel:WORD_1
	v_fma_f16 v104, v62, v8, v79
	s_waitcnt lgkmcnt(0)
	v_lshrrev_b32_e32 v62, 16, v77
	v_mul_f16_sdwa v79, v77, v9 dst_sel:DWORD dst_unused:UNUSED_PAD src0_sel:DWORD src1_sel:WORD_1
	ds_read2_b32 v[80:81], v18 offset0:48 offset1:150
	v_fma_f16 v110, v62, v9, v79
	v_mul_f16_sdwa v62, v62, v9 dst_sel:DWORD dst_unused:UNUSED_PAD src0_sel:DWORD src1_sel:WORD_1
	v_fma_f16 v108, v77, v9, -v62
	v_lshrrev_b32_e32 v62, 16, v78
	v_mul_f16_sdwa v77, v62, v10 dst_sel:DWORD dst_unused:UNUSED_PAD src0_sel:DWORD src1_sel:WORD_1
	v_fma_f16 v96, v78, v10, -v77
	v_mul_f16_sdwa v77, v78, v10 dst_sel:DWORD dst_unused:UNUSED_PAD src0_sel:DWORD src1_sel:WORD_1
	v_fma_f16 v95, v62, v10, v77
	s_waitcnt lgkmcnt(0)
	v_lshrrev_b32_e32 v77, 16, v80
	v_mul_f16_sdwa v62, v80, v11 dst_sel:DWORD dst_unused:UNUSED_PAD src0_sel:DWORD src1_sel:WORD_1
	v_fma_f16 v62, v77, v11, v62
	v_mul_f16_sdwa v77, v77, v11 dst_sel:DWORD dst_unused:UNUSED_PAD src0_sel:DWORD src1_sel:WORD_1
	v_fma_f16 v80, v80, v11, -v77
	ds_read2_b32 v[77:78], v22 offset0:124 offset1:226
	v_lshrrev_b32_e32 v79, 16, v81
	s_waitcnt vmcnt(0)
	v_mul_f16_sdwa v22, v79, v12 dst_sel:DWORD dst_unused:UNUSED_PAD src0_sel:DWORD src1_sel:WORD_1
	v_fma_f16 v82, v81, v12, -v22
	v_mul_f16_sdwa v22, v81, v12 dst_sel:DWORD dst_unused:UNUSED_PAD src0_sel:DWORD src1_sel:WORD_1
	v_fma_f16 v81, v79, v12, v22
	s_waitcnt lgkmcnt(0)
	v_lshrrev_b32_e32 v22, 16, v77
	v_mul_f16_sdwa v79, v77, v13 dst_sel:DWORD dst_unused:UNUSED_PAD src0_sel:DWORD src1_sel:WORD_1
	v_fma_f16 v97, v22, v13, v79
	v_mul_f16_sdwa v22, v22, v13 dst_sel:DWORD dst_unused:UNUSED_PAD src0_sel:DWORD src1_sel:WORD_1
	v_fma_f16 v98, v77, v13, -v22
	ds_read2_b32 v[21:22], v21 offset0:72 offset1:174
	v_lshrrev_b32_e32 v77, 16, v78
	v_mul_f16_sdwa v79, v77, v14 dst_sel:DWORD dst_unused:UNUSED_PAD src0_sel:DWORD src1_sel:WORD_1
	v_fma_f16 v109, v78, v14, -v79
	v_mul_f16_sdwa v78, v78, v14 dst_sel:DWORD dst_unused:UNUSED_PAD src0_sel:DWORD src1_sel:WORD_1
	v_fma_f16 v111, v77, v14, v78
	s_waitcnt lgkmcnt(0)
	v_lshrrev_b32_e32 v77, 16, v21
	v_mul_f16_sdwa v78, v21, v15 dst_sel:DWORD dst_unused:UNUSED_PAD src0_sel:DWORD src1_sel:WORD_1
	v_fma_f16 v105, v77, v15, v78
	v_mul_f16_sdwa v77, v77, v15 dst_sel:DWORD dst_unused:UNUSED_PAD src0_sel:DWORD src1_sel:WORD_1
	v_fma_f16 v103, v21, v15, -v77
	ds_read2_b32 v[20:21], v20 offset0:148 offset1:250
	v_lshrrev_b32_e32 v77, 16, v22
	v_mul_f16_sdwa v78, v77, v4 dst_sel:DWORD dst_unused:UNUSED_PAD src0_sel:DWORD src1_sel:WORD_1
	v_fma_f16 v93, v22, v4, -v78
	v_mul_f16_sdwa v22, v22, v4 dst_sel:DWORD dst_unused:UNUSED_PAD src0_sel:DWORD src1_sel:WORD_1
	v_fma_f16 v107, v77, v4, v22
	s_waitcnt lgkmcnt(0)
	v_lshrrev_b32_e32 v22, 16, v20
	v_mul_f16_sdwa v77, v20, v5 dst_sel:DWORD dst_unused:UNUSED_PAD src0_sel:DWORD src1_sel:WORD_1
	v_fma_f16 v89, v22, v5, v77
	v_mul_f16_sdwa v22, v22, v5 dst_sel:DWORD dst_unused:UNUSED_PAD src0_sel:DWORD src1_sel:WORD_1
	v_fma_f16 v90, v20, v5, -v22
	v_lshrrev_b32_e32 v20, 16, v21
	v_mul_f16_sdwa v22, v20, v6 dst_sel:DWORD dst_unused:UNUSED_PAD src0_sel:DWORD src1_sel:WORD_1
	v_fma_f16 v77, v21, v6, -v22
	v_mul_f16_sdwa v21, v21, v6 dst_sel:DWORD dst_unused:UNUSED_PAD src0_sel:DWORD src1_sel:WORD_1
	v_fma_f16 v79, v20, v6, v21
	v_add_f16_e32 v20, v99, v86
	v_add_f16_e32 v21, v100, v85
	;; [unrolled: 1-line block ×29, first 2 shown]
	v_sub_f16_e32 v78, v86, v77
	v_add_f16_e32 v77, v85, v79
	v_sub_f16_e32 v79, v85, v79
	v_add_f16_e32 v20, v20, v83
	v_mul_f16_e32 v83, 0xb964, v79
	v_add_f16_e32 v21, v21, v84
	v_fma_f16 v84, v22, s2, -v83
	v_add_f16_e32 v91, v84, v101
	v_mul_f16_e32 v84, 0xb964, v78
	v_fma_f16 v85, v77, s2, v84
	v_add_f16_e32 v86, v88, v89
	v_sub_f16_e32 v88, v88, v89
	v_add_f16_e32 v99, v85, v106
	v_add_f16_e32 v85, v87, v90
	v_mul_f16_e32 v89, 0xbb29, v88
	v_sub_f16_e32 v87, v87, v90
	v_fma_f16 v90, v85, s1, -v89
	v_add_f16_e32 v100, v90, v91
	v_mul_f16_e32 v90, 0xbb29, v87
	v_fma_f16 v91, v86, s1, v90
	v_add_f16_e32 v101, v91, v99
	v_add_f16_e32 v91, v92, v93
	v_sub_f16_e32 v93, v92, v93
	v_add_f16_e32 v92, v94, v107
	v_sub_f16_e32 v94, v94, v107
	v_mul_f16_e32 v99, 0xbbf7, v94
	v_fma_f16 v106, v91, s0, -v99
	v_add_f16_e32 v106, v106, v100
	v_mul_f16_e32 v100, 0xbbf7, v93
	v_fma_f16 v107, v92, s0, v100
	v_add_f16_e32 v107, v107, v101
	v_add_f16_e32 v101, v102, v103
	v_sub_f16_e32 v103, v102, v103
	v_add_f16_e32 v102, v104, v105
	v_sub_f16_e32 v104, v104, v105
	v_mul_f16_e32 v105, 0xbbb2, v104
	;; [unrolled: 10-line block ×5, first 2 shown]
	v_fma_f16 v62, v115, s16, -v116
	v_add_f16_e32 v119, v62, v117
	v_mul_f16_e32 v117, 0xb1e1, v82
	v_fma_f16 v62, v80, s16, v117
	v_add_f16_e32 v118, v62, v118
	v_add_lshl_u32 v62, v23, v24, 2
	v_mul_f16_e32 v23, 0xbbf7, v79
	v_fma_f16 v24, v22, s0, -v23
	v_add_f16_e32 v24, v24, v74
	v_mul_f16_e32 v74, 0xbbf7, v78
	v_fma_f16 v23, v22, s0, v23
	v_pack_b32_f16 v20, v20, v21
	v_pack_b32_f16 v21, v119, v118
	v_add_f16_e32 v23, v23, v72
	v_fma_f16 v72, v77, s0, -v74
	s_barrier
	ds_write2_b32 v62, v20, v21 offset1:17
	v_fma_f16 v21, v77, s2, -v84
	v_add_f16_e32 v71, v72, v71
	v_mul_f16_e32 v72, 0xba62, v79
	v_add_f16_e32 v21, v21, v75
	v_fma_f16 v75, v77, s0, v74
	v_fma_f16 v74, v22, s7, -v72
	v_add_f16_e32 v70, v74, v70
	v_mul_f16_e32 v74, 0xba62, v78
	v_fma_f16 v72, v22, s7, v72
	v_add_f16_e32 v68, v72, v68
	v_fma_f16 v72, v77, s7, -v74
	v_add_f16_e32 v67, v72, v67
	v_mul_f16_e32 v72, 0xb1e1, v79
	v_add_f16_e32 v73, v75, v73
	v_fma_f16 v75, v77, s7, v74
	v_fma_f16 v74, v22, s16, -v72
	v_add_f16_e32 v66, v74, v66
	v_mul_f16_e32 v74, 0xb1e1, v78
	v_fma_f16 v72, v22, s16, v72
	v_add_f16_e32 v64, v72, v64
	;; [unrolled: 10-line block ×5, first 2 shown]
	v_fma_f16 v72, v77, s1, -v74
	v_add_f16_e32 v29, v72, v29
	v_mul_f16_e32 v72, 0x35c8, v79
	v_add_f16_e32 v35, v75, v35
	v_fma_f16 v75, v77, s1, v74
	v_fma_f16 v74, v22, s6, -v72
	v_fma_f16 v20, v22, s2, v83
	v_add_f16_e32 v27, v74, v27
	v_mul_f16_e32 v74, 0x35c8, v78
	v_fma_f16 v22, v22, s6, v72
	v_add_f16_e32 v22, v22, v25
	v_fma_f16 v25, v77, s6, -v74
	v_add_f16_e32 v20, v20, v76
	v_add_f16_e32 v19, v25, v19
	v_fma_f16 v25, v85, s1, v89
	v_add_f16_e32 v20, v25, v20
	v_fma_f16 v25, v86, s1, -v90
	v_add_f16_e32 v21, v25, v21
	v_mul_f16_e32 v25, 0xba62, v88
	v_fma_f16 v72, v85, s7, -v25
	v_add_f16_e32 v24, v72, v24
	v_mul_f16_e32 v72, 0xba62, v87
	v_fma_f16 v25, v85, s7, v25
	v_add_f16_e32 v23, v25, v23
	v_fma_f16 v25, v86, s7, -v72
	v_add_f16_e32 v25, v25, v71
	v_mul_f16_e32 v71, 0x31e1, v88
	v_add_f16_e32 v31, v75, v31
	v_fma_f16 v75, v77, s6, v74
	v_fma_f16 v74, v86, s7, v72
	v_fma_f16 v72, v85, s16, -v71
	v_add_f16_e32 v70, v72, v70
	v_mul_f16_e32 v72, 0x31e1, v87
	v_fma_f16 v71, v85, s16, v71
	v_add_f16_e32 v68, v71, v68
	v_fma_f16 v71, v86, s16, -v72
	v_add_f16_e32 v67, v71, v67
	v_mul_f16_e32 v71, 0x3bb2, v88
	v_add_f16_e32 v73, v74, v73
	v_fma_f16 v74, v86, s16, v72
	v_fma_f16 v72, v85, s3, -v71
	v_add_f16_e32 v66, v72, v66
	v_mul_f16_e32 v72, 0x3bb2, v87
	v_fma_f16 v71, v85, s3, v71
	v_add_f16_e32 v64, v71, v64
	v_fma_f16 v71, v86, s3, -v72
	v_add_f16_e32 v63, v71, v63
	v_mul_f16_e32 v71, 0x3964, v88
	v_add_f16_e32 v69, v74, v69
	;; [unrolled: 10-line block ×5, first 2 shown]
	v_fma_f16 v74, v86, s0, v72
	v_fma_f16 v72, v85, s12, -v71
	v_add_f16_e32 v27, v72, v27
	v_mul_f16_e32 v72, 0xb836, v87
	v_fma_f16 v71, v85, s12, v71
	v_add_f16_e32 v22, v71, v22
	v_fma_f16 v71, v86, s12, -v72
	v_add_f16_e32 v19, v71, v19
	v_fma_f16 v71, v91, s0, v99
	v_add_f16_e32 v20, v71, v20
	v_fma_f16 v71, v92, s0, -v100
	v_add_f16_e32 v21, v71, v21
	v_mul_f16_e32 v71, 0xb1e1, v94
	v_add_f16_e32 v31, v74, v31
	v_fma_f16 v74, v86, s12, v72
	v_fma_f16 v72, v91, s16, -v71
	v_add_f16_e32 v24, v72, v24
	v_mul_f16_e32 v72, 0xb1e1, v93
	v_fma_f16 v71, v91, s16, v71
	v_add_f16_e32 v23, v71, v23
	v_fma_f16 v71, v92, s16, -v72
	v_add_f16_e32 v26, v75, v26
	v_add_f16_e32 v25, v71, v25
	v_mul_f16_e32 v71, 0x3bb2, v94
	v_add_f16_e32 v26, v74, v26
	v_fma_f16 v74, v92, s16, v72
	v_fma_f16 v72, v91, s3, -v71
	v_add_f16_e32 v70, v72, v70
	v_mul_f16_e32 v72, 0x3bb2, v93
	v_fma_f16 v71, v91, s3, v71
	v_add_f16_e32 v68, v71, v68
	v_fma_f16 v71, v92, s3, -v72
	v_add_f16_e32 v67, v71, v67
	v_mul_f16_e32 v71, 0x35c8, v94
	v_add_f16_e32 v73, v74, v73
	v_fma_f16 v74, v92, s3, v72
	v_fma_f16 v72, v91, s6, -v71
	v_add_f16_e32 v66, v72, v66
	v_mul_f16_e32 v72, 0x35c8, v93
	v_fma_f16 v71, v91, s6, v71
	v_add_f16_e32 v64, v71, v64
	v_fma_f16 v71, v92, s6, -v72
	;; [unrolled: 10-line block ×6, first 2 shown]
	v_add_f16_e32 v19, v71, v19
	v_fma_f16 v71, v101, s3, v105
	v_add_f16_e32 v20, v71, v20
	v_fma_f16 v71, v102, s3, -v106
	v_add_f16_e32 v21, v71, v21
	v_mul_f16_e32 v71, 0x3836, v104
	v_add_f16_e32 v31, v74, v31
	v_fma_f16 v74, v92, s2, v72
	v_fma_f16 v72, v101, s12, -v71
	v_add_f16_e32 v24, v72, v24
	v_mul_f16_e32 v72, 0x3836, v103
	v_fma_f16 v71, v101, s12, v71
	v_add_f16_e32 v23, v71, v23
	v_fma_f16 v71, v102, s12, -v72
	v_add_f16_e32 v25, v71, v25
	v_mul_f16_e32 v71, 0x3964, v104
	v_add_f16_e32 v26, v74, v26
	v_fma_f16 v74, v102, s12, v72
	v_fma_f16 v72, v101, s2, -v71
	v_add_f16_e32 v70, v72, v70
	v_mul_f16_e32 v72, 0x3964, v103
	v_fma_f16 v71, v101, s2, v71
	v_add_f16_e32 v68, v71, v68
	v_fma_f16 v71, v102, s2, -v72
	v_add_f16_e32 v67, v71, v67
	v_mul_f16_e32 v71, 0xbb29, v104
	v_add_f16_e32 v73, v74, v73
	v_fma_f16 v74, v102, s2, v72
	v_fma_f16 v72, v101, s1, -v71
	v_add_f16_e32 v66, v72, v66
	v_mul_f16_e32 v72, 0xbb29, v103
	v_fma_f16 v71, v101, s1, v71
	v_add_f16_e32 v64, v71, v64
	v_fma_f16 v71, v102, s1, -v72
	v_add_f16_e32 v63, v71, v63
	v_mul_f16_e32 v71, 0xb1e1, v104
	v_add_f16_e32 v69, v74, v69
	v_fma_f16 v74, v102, s1, v72
	v_fma_f16 v72, v101, s16, -v71
	v_add_f16_e32 v40, v72, v40
	v_mul_f16_e32 v72, 0xb1e1, v103
	v_fma_f16 v71, v101, s16, v71
	v_add_f16_e32 v38, v71, v38
	v_fma_f16 v71, v102, s16, -v72
	v_add_f16_e32 v37, v71, v37
	v_mul_f16_e32 v71, 0x3bf7, v104
	v_add_f16_e32 v65, v74, v65
	v_fma_f16 v74, v102, s16, v72
	v_fma_f16 v72, v101, s0, -v71
	v_add_f16_e32 v36, v72, v36
	v_mul_f16_e32 v72, 0x3bf7, v103
	v_fma_f16 v71, v101, s0, v71
	v_add_f16_e32 v34, v71, v34
	v_fma_f16 v71, v102, s0, -v72
	v_add_f16_e32 v33, v71, v33
	v_mul_f16_e32 v71, 0xb5c8, v104
	v_add_f16_e32 v39, v74, v39
	v_fma_f16 v74, v102, s0, v72
	v_fma_f16 v72, v101, s6, -v71
	v_add_f16_e32 v32, v72, v32
	v_mul_f16_e32 v72, 0xb5c8, v103
	v_fma_f16 v71, v101, s6, v71
	v_add_f16_e32 v30, v71, v30
	v_fma_f16 v71, v102, s6, -v72
	v_add_f16_e32 v29, v71, v29
	v_mul_f16_e32 v71, 0xba62, v104
	v_add_f16_e32 v35, v74, v35
	v_fma_f16 v74, v102, s6, v72
	v_fma_f16 v72, v101, s7, -v71
	v_add_f16_e32 v27, v72, v27
	v_mul_f16_e32 v72, 0xba62, v103
	v_fma_f16 v71, v101, s7, v71
	v_add_f16_e32 v22, v71, v22
	v_fma_f16 v71, v102, s7, -v72
	v_add_f16_e32 v19, v71, v19
	v_fma_f16 v71, v107, s7, v111
	v_add_f16_e32 v20, v71, v20
	v_fma_f16 v71, v108, s7, -v112
	v_add_f16_e32 v21, v71, v21
	v_mul_f16_e32 v71, 0x3bb2, v110
	v_add_f16_e32 v31, v74, v31
	v_fma_f16 v74, v102, s7, v72
	v_fma_f16 v72, v107, s3, -v71
	v_add_f16_e32 v24, v72, v24
	v_mul_f16_e32 v72, 0x3bb2, v109
	v_fma_f16 v71, v107, s3, v71
	v_add_f16_e32 v23, v71, v23
	v_fma_f16 v71, v108, s3, -v72
	v_add_f16_e32 v25, v71, v25
	v_mul_f16_e32 v71, 0xb5c8, v110
	v_add_f16_e32 v26, v74, v26
	v_fma_f16 v74, v108, s3, v72
	v_fma_f16 v72, v107, s6, -v71
	v_add_f16_e32 v70, v72, v70
	v_mul_f16_e32 v72, 0xb5c8, v109
	;; [unrolled: 10-line block ×7, first 2 shown]
	v_fma_f16 v71, v107, s1, v71
	v_add_f16_e32 v22, v71, v22
	v_fma_f16 v71, v108, s1, -v72
	v_add_f16_e32 v19, v71, v19
	v_fma_f16 v71, v113, s12, v97
	v_add_f16_e32 v20, v71, v20
	v_fma_f16 v71, v96, s12, -v114
	v_add_f16_e32 v21, v71, v21
	v_mul_f16_e32 v71, 0x3b29, v95
	v_add_f16_e32 v31, v74, v31
	v_fma_f16 v74, v108, s1, v72
	v_fma_f16 v72, v113, s1, -v71
	v_add_f16_e32 v24, v72, v24
	v_mul_f16_e32 v72, 0x3b29, v98
	v_fma_f16 v71, v113, s1, v71
	v_add_f16_e32 v23, v71, v23
	v_fma_f16 v71, v96, s1, -v72
	v_add_f16_e32 v25, v71, v25
	v_mul_f16_e32 v71, 0xbbf7, v95
	v_add_f16_e32 v26, v74, v26
	v_fma_f16 v74, v96, s1, v72
	v_fma_f16 v72, v113, s0, -v71
	v_add_f16_e32 v73, v74, v73
	v_add_f16_e32 v74, v72, v70
	v_mul_f16_e32 v70, 0xbbf7, v98
	v_fma_f16 v72, v96, s0, v70
	v_add_f16_e32 v75, v72, v69
	v_fma_f16 v69, v113, s0, v71
	v_add_f16_e32 v71, v69, v68
	v_fma_f16 v68, v96, s0, -v70
	v_add_f16_e32 v67, v68, v67
	v_mul_f16_e32 v68, 0x3a62, v95
	v_fma_f16 v69, v113, s7, -v68
	v_add_f16_e32 v66, v69, v66
	v_mul_f16_e32 v69, 0x3a62, v98
	v_fma_f16 v68, v113, s7, v68
	v_add_f16_e32 v64, v68, v64
	v_fma_f16 v68, v96, s7, -v69
	v_add_f16_e32 v63, v68, v63
	v_mul_f16_e32 v68, 0xb5c8, v95
	v_fma_f16 v70, v96, s7, v69
	v_fma_f16 v69, v113, s6, -v68
	v_add_f16_e32 v40, v69, v40
	v_mul_f16_e32 v69, 0xb5c8, v98
	v_fma_f16 v68, v113, s6, v68
	v_add_f16_e32 v38, v68, v38
	v_fma_f16 v68, v96, s6, -v69
	v_add_f16_e32 v37, v68, v37
	v_mul_f16_e32 v68, 0xb1e1, v95
	v_add_f16_e32 v65, v70, v65
	v_fma_f16 v70, v96, s6, v69
	v_fma_f16 v69, v113, s16, -v68
	v_add_f16_e32 v36, v69, v36
	v_mul_f16_e32 v69, 0xb1e1, v98
	v_fma_f16 v68, v113, s16, v68
	v_add_f16_e32 v34, v68, v34
	v_fma_f16 v68, v96, s16, -v69
	v_add_f16_e32 v33, v68, v33
	v_mul_f16_e32 v68, 0x3964, v95
	v_add_f16_e32 v39, v70, v39
	;; [unrolled: 10-line block ×3, first 2 shown]
	v_fma_f16 v70, v96, s2, v69
	v_fma_f16 v69, v113, s3, -v68
	v_add_f16_e32 v27, v69, v27
	v_mul_f16_e32 v69, 0xbbb2, v98
	v_fma_f16 v68, v113, s3, v68
	v_add_f16_e32 v22, v68, v22
	v_fma_f16 v68, v96, s3, -v69
	v_add_f16_e32 v19, v68, v19
	v_fma_f16 v68, v115, s16, v116
	v_add_f16_e32 v31, v70, v31
	v_fma_f16 v70, v96, s3, v69
	v_add_f16_e32 v68, v68, v20
	v_fma_f16 v20, v80, s16, -v117
	v_add_f16_e32 v26, v70, v26
	v_add_f16_e32 v70, v20, v21
	v_mul_f16_e32 v20, 0x35c8, v81
	v_fma_f16 v21, v115, s6, -v20
	v_add_f16_e32 v21, v21, v24
	v_mul_f16_e32 v24, 0x35c8, v82
	v_fma_f16 v69, v80, s6, v24
	v_fma_f16 v20, v115, s6, v20
	v_add_f16_e32 v76, v69, v73
	v_add_f16_e32 v69, v20, v23
	v_fma_f16 v20, v80, s6, -v24
	v_add_f16_e32 v72, v20, v25
	v_mul_f16_e32 v20, 0xb836, v81
	v_fma_f16 v23, v115, s12, -v20
	v_mul_f16_e32 v24, 0xb836, v82
	v_fma_f16 v20, v115, s12, v20
	v_add_f16_e32 v71, v20, v71
	v_fma_f16 v20, v80, s12, -v24
	v_add_f16_e32 v23, v23, v74
	v_add_f16_e32 v74, v20, v67
	v_mul_f16_e32 v20, 0x3964, v81
	v_fma_f16 v25, v80, s12, v24
	v_fma_f16 v24, v115, s2, -v20
	v_add_f16_e32 v24, v24, v66
	v_mul_f16_e32 v66, 0x3964, v82
	v_fma_f16 v20, v115, s2, v20
	v_add_f16_e32 v73, v20, v64
	v_fma_f16 v20, v80, s2, -v66
	v_add_f16_e32 v25, v25, v75
	v_add_f16_e32 v75, v20, v63
	v_mul_f16_e32 v20, 0xba62, v81
	v_fma_f16 v63, v115, s7, -v20
	v_add_f16_e32 v40, v63, v40
	v_mul_f16_e32 v63, 0xba62, v82
	v_fma_f16 v20, v115, s7, v20
	v_fma_f16 v67, v80, s2, v66
	v_add_f16_e32 v66, v20, v38
	v_fma_f16 v20, v80, s7, -v63
	v_add_f16_e32 v65, v67, v65
	v_add_f16_e32 v67, v20, v37
	v_mul_f16_e32 v20, 0x3b29, v81
	v_fma_f16 v37, v115, s1, -v20
	v_add_f16_e32 v36, v37, v36
	v_mul_f16_e32 v37, 0x3b29, v82
	v_fma_f16 v20, v115, s1, v20
	v_add_f16_e32 v20, v20, v34
	v_fma_f16 v34, v80, s1, -v37
	v_add_f16_e32 v33, v34, v33
	v_mul_f16_e32 v34, 0xbbb2, v81
	v_fma_f16 v38, v80, s1, v37
	v_fma_f16 v37, v115, s3, -v34
	v_add_f16_e32 v32, v37, v32
	v_mul_f16_e32 v37, 0xbbb2, v82
	v_fma_f16 v34, v115, s3, v34
	v_add_f16_e32 v30, v34, v30
	v_fma_f16 v34, v80, s3, -v37
	v_add_f16_e32 v29, v34, v29
	v_mul_f16_e32 v34, 0x3bf7, v81
	v_fma_f16 v64, v80, s7, v63
	v_add_f16_e32 v35, v38, v35
	v_fma_f16 v38, v80, s3, v37
	v_fma_f16 v37, v115, s0, -v34
	v_add_f16_e32 v39, v64, v39
	v_add_f16_e32 v27, v37, v27
	v_mul_f16_e32 v37, 0x3bf7, v82
	v_fma_f16 v34, v115, s0, v34
	v_pack_b32_f16 v21, v21, v76
	v_pack_b32_f16 v23, v23, v25
	v_add_f16_e32 v31, v38, v31
	v_fma_f16 v38, v80, s0, v37
	v_add_f16_e32 v22, v34, v22
	v_fma_f16 v34, v80, s0, -v37
	ds_write2_b32 v62, v21, v23 offset0:34 offset1:51
	v_pack_b32_f16 v21, v24, v65
	v_pack_b32_f16 v23, v40, v39
	v_add_f16_e32 v26, v38, v26
	v_add_f16_e32 v19, v34, v19
	ds_write2_b32 v62, v21, v23 offset0:68 offset1:85
	v_pack_b32_f16 v21, v36, v35
	v_pack_b32_f16 v23, v32, v31
	ds_write2_b32 v62, v21, v23 offset0:102 offset1:119
	v_pack_b32_f16 v21, v27, v26
	v_pack_b32_f16 v19, v22, v19
	;; [unrolled: 3-line block ×5, first 2 shown]
	ds_write2_b32 v62, v19, v20 offset0:238 offset1:255
	v_pack_b32_f16 v19, v68, v70
	ds_write_b32 v62, v19 offset:1088
	s_waitcnt lgkmcnt(0)
	s_barrier
	ds_read2_b32 v[29:30], v41 offset1:102
	ds_read2_b32 v[39:40], v16 offset0:33 offset1:135
	ds_read2_b32 v[37:38], v17 offset0:66 offset1:168
	;; [unrolled: 1-line block ×3, first 2 shown]
	v_add_u32_e32 v16, 0x1000, v41
	ds_read2_b32 v[33:34], v16 offset0:132 offset1:234
	v_add_u32_e32 v16, 0x1600, v41
	ds_read2_b32 v[35:36], v16 offset0:37 offset1:139
	s_movk_i32 s0, 0x55
	v_cmp_gt_u16_e64 s[0:1], s0, v57
                                        ; implicit-def: $vgpr76
                                        ; implicit-def: $vgpr77
	s_and_saveexec_b64 s[2:3], s[0:1]
	s_cbranch_execz .LBB0_3
; %bb.2:
	ds_read_b32 v66, v41 offset:816
	ds_read_b32 v73, v41 offset:1972
	;; [unrolled: 1-line block ×6, first 2 shown]
	s_waitcnt lgkmcnt(5)
	v_lshrrev_b32_e32 v67, 16, v66
	s_waitcnt lgkmcnt(4)
	v_lshrrev_b32_e32 v75, 16, v73
	s_waitcnt lgkmcnt(3)
	v_lshrrev_b32_e32 v74, 16, v71
	s_waitcnt lgkmcnt(2)
	v_lshrrev_b32_e32 v72, 16, v69
	s_waitcnt lgkmcnt(1)
	v_lshrrev_b32_e32 v70, 16, v68
	s_waitcnt lgkmcnt(0)
	v_lshrrev_b32_e32 v77, 16, v76
.LBB0_3:
	s_or_b64 exec, exec, s[2:3]
	v_mad_u64_u32 v[16:17], s[2:3], v57, 20, s[14:15]
	v_add_u32_e32 v18, 0xcc, v57
	v_add_u32_e32 v19, 0xffffffab, v57
	v_cndmask_b32_e64 v18, v19, v18, s[0:1]
	v_mul_hi_i32_i24_e32 v19, 20, v18
	v_mul_i32_i24_e32 v18, 20, v18
	global_load_dwordx4 v[20:23], v[16:17], off offset:1088
	global_load_dword v64, v[16:17], off offset:1104
	v_mov_b32_e32 v63, s15
	v_add_co_u32_e64 v78, s[2:3], s14, v18
	global_load_dwordx4 v[24:27], v[16:17], off offset:3128
	global_load_dword v65, v[16:17], off offset:3144
	v_addc_co_u32_e64 v79, s[2:3], v63, v19, s[2:3]
	global_load_dwordx4 v[16:19], v[78:79], off offset:1088
	global_load_dword v63, v[78:79], off offset:1104
	s_waitcnt lgkmcnt(3)
	v_lshrrev_b32_e32 v80, 16, v37
	s_waitcnt lgkmcnt(1)
	v_lshrrev_b32_e32 v82, 16, v33
	v_lshrrev_b32_e32 v79, 16, v39
	;; [unrolled: 1-line block ×3, first 2 shown]
	s_waitcnt lgkmcnt(0)
	v_lshrrev_b32_e32 v83, 16, v35
	v_lshrrev_b32_e32 v87, 16, v32
	;; [unrolled: 1-line block ×6, first 2 shown]
	s_movk_i32 s2, 0x3aee
	s_mov_b32 s3, 0xbaee
	v_lshrrev_b32_e32 v89, 16, v36
	v_lshrrev_b32_e32 v84, 16, v30
	s_waitcnt vmcnt(5)
	v_mul_f16_sdwa v91, v39, v20 dst_sel:DWORD dst_unused:UNUSED_PAD src0_sel:DWORD src1_sel:WORD_1
	v_mul_f16_sdwa v92, v80, v21 dst_sel:DWORD dst_unused:UNUSED_PAD src0_sel:DWORD src1_sel:WORD_1
	;; [unrolled: 1-line block ×7, first 2 shown]
	s_waitcnt vmcnt(4)
	v_mul_f16_sdwa v98, v83, v64 dst_sel:DWORD dst_unused:UNUSED_PAD src0_sel:DWORD src1_sel:WORD_1
	s_waitcnt vmcnt(3)
	v_mul_f16_sdwa v104, v87, v26 dst_sel:DWORD dst_unused:UNUSED_PAD src0_sel:DWORD src1_sel:WORD_1
	;; [unrolled: 2-line block ×3, first 2 shown]
	v_mul_f16_sdwa v112, v74, v17 dst_sel:DWORD dst_unused:UNUSED_PAD src0_sel:DWORD src1_sel:WORD_1
	v_fma_f16 v79, v79, v20, v91
	v_fma_f16 v91, v37, v21, -v92
	v_fma_f16 v80, v80, v21, v93
	v_fma_f16 v93, v33, v23, -v96
	v_fma_f16 v82, v82, v23, v97
	v_mul_f16_sdwa v95, v31, v22 dst_sel:DWORD dst_unused:UNUSED_PAD src0_sel:DWORD src1_sel:WORD_1
	v_mul_f16_sdwa v99, v35, v64 dst_sel:DWORD dst_unused:UNUSED_PAD src0_sel:DWORD src1_sel:WORD_1
	v_mul_f16_sdwa v105, v32, v26 dst_sel:DWORD dst_unused:UNUSED_PAD src0_sel:DWORD src1_sel:WORD_1
	v_mul_f16_sdwa v106, v88, v27 dst_sel:DWORD dst_unused:UNUSED_PAD src0_sel:DWORD src1_sel:WORD_1
	v_mul_f16_sdwa v111, v73, v16 dst_sel:DWORD dst_unused:UNUSED_PAD src0_sel:DWORD src1_sel:WORD_1
	v_mul_f16_sdwa v113, v71, v17 dst_sel:DWORD dst_unused:UNUSED_PAD src0_sel:DWORD src1_sel:WORD_1
	v_mul_f16_sdwa v114, v72, v18 dst_sel:DWORD dst_unused:UNUSED_PAD src0_sel:DWORD src1_sel:WORD_1
	v_mul_f16_sdwa v116, v70, v19 dst_sel:DWORD dst_unused:UNUSED_PAD src0_sel:DWORD src1_sel:WORD_1
	v_mul_f16_sdwa v117, v68, v19 dst_sel:DWORD dst_unused:UNUSED_PAD src0_sel:DWORD src1_sel:WORD_1
	v_fma_f16 v92, v31, v22, -v94
	v_fma_f16 v35, v35, v64, -v98
	;; [unrolled: 1-line block ×5, first 2 shown]
	s_waitcnt vmcnt(0)
	v_mul_f16_sdwa v37, v77, v63 dst_sel:DWORD dst_unused:UNUSED_PAD src0_sel:DWORD src1_sel:WORD_1
	v_add_f16_e32 v71, v91, v93
	v_add_f16_e32 v73, v80, v82
	v_mul_f16_sdwa v100, v85, v24 dst_sel:DWORD dst_unused:UNUSED_PAD src0_sel:DWORD src1_sel:WORD_1
	v_mul_f16_sdwa v102, v86, v25 dst_sel:DWORD dst_unused:UNUSED_PAD src0_sel:DWORD src1_sel:WORD_1
	;; [unrolled: 1-line block ×4, first 2 shown]
	v_fma_f16 v90, v39, v20, -v90
	v_fma_f16 v81, v81, v22, v95
	v_fma_f16 v83, v83, v64, v99
	v_fma_f16 v97, v34, v27, -v106
	v_fma_f16 v39, v74, v17, v113
	v_fma_f16 v33, v69, v18, -v114
	v_fma_f16 v34, v68, v19, -v116
	v_fma_f16 v68, v70, v19, v117
	v_fma_f16 v37, v76, v63, -v37
	v_mul_f16_sdwa v69, v76, v63 dst_sel:DWORD dst_unused:UNUSED_PAD src0_sel:DWORD src1_sel:WORD_1
	v_add_f16_e32 v70, v29, v91
	v_fma_f16 v29, v71, -0.5, v29
	v_sub_f16_e32 v71, v80, v82
	v_fma_f16 v73, v73, -0.5, v78
	v_sub_f16_e32 v74, v91, v93
	v_add_f16_e32 v76, v92, v35
	v_mul_f16_sdwa v101, v40, v24 dst_sel:DWORD dst_unused:UNUSED_PAD src0_sel:DWORD src1_sel:WORD_1
	v_mul_f16_sdwa v103, v38, v25 dst_sel:DWORD dst_unused:UNUSED_PAD src0_sel:DWORD src1_sel:WORD_1
	v_fma_f16 v94, v40, v24, -v100
	v_fma_f16 v95, v38, v25, -v102
	v_fma_f16 v38, v75, v16, v111
	v_fma_f16 v40, v72, v18, v115
	;; [unrolled: 1-line block ×5, first 2 shown]
	v_add_f16_e32 v71, v78, v80
	v_fma_f16 v75, v74, s3, v73
	v_fma_f16 v73, v74, s2, v73
	v_add_f16_e32 v74, v90, v92
	v_fma_f16 v76, v76, -0.5, v90
	v_sub_f16_e32 v77, v81, v83
	v_add_f16_e32 v80, v81, v83
	v_add_f16_e32 v74, v74, v35
	v_fma_f16 v78, v77, s2, v76
	v_fma_f16 v76, v77, s3, v76
	v_add_f16_e32 v77, v79, v81
	v_fma_f16 v79, v80, -0.5, v79
	v_sub_f16_e32 v35, v92, v35
	v_fma_f16 v80, v35, s3, v79
	v_fma_f16 v86, v86, v25, v103
	;; [unrolled: 1-line block ×3, first 2 shown]
	v_add_f16_e32 v71, v71, v82
	v_add_f16_e32 v77, v77, v83
	v_fma_f16 v35, v35, s2, v79
	v_mul_f16_e32 v79, 0x3aee, v80
	v_mul_f16_e32 v83, -0.5, v76
	v_mul_f16_sdwa v108, v89, v65 dst_sel:DWORD dst_unused:UNUSED_PAD src0_sel:DWORD src1_sel:WORD_1
	v_mul_f16_sdwa v109, v36, v65 dst_sel:DWORD dst_unused:UNUSED_PAD src0_sel:DWORD src1_sel:WORD_1
	v_fma_f16 v79, v78, 0.5, v79
	v_fma_f16 v83, v35, s2, v83
	v_add_f16_e32 v91, v71, v77
	v_mul_f16_e32 v78, 0xbaee, v78
	v_mul_f16_e32 v35, -0.5, v35
	v_sub_f16_e32 v99, v71, v77
	v_add_f16_e32 v71, v86, v88
	v_fma_f16 v87, v87, v26, v105
	v_fma_f16 v36, v36, v65, -v108
	v_fma_f16 v89, v89, v65, v109
	v_add_f16_e32 v70, v70, v93
	v_add_f16_e32 v82, v72, v79
	v_fma_f16 v78, v80, 0.5, v78
	v_fma_f16 v35, v76, s3, v35
	v_sub_f16_e32 v98, v72, v79
	v_fma_f16 v71, v71, -0.5, v84
	v_sub_f16_e32 v72, v95, v97
	v_fma_f16 v85, v85, v24, v101
	v_add_f16_e32 v81, v70, v74
	v_add_f16_e32 v80, v75, v78
	;; [unrolled: 1-line block ×3, first 2 shown]
	v_sub_f16_e32 v93, v70, v74
	v_sub_f16_e32 v101, v73, v35
	v_fma_f16 v73, v72, s3, v71
	v_fma_f16 v71, v72, s2, v71
	v_add_f16_e32 v72, v94, v96
	v_add_f16_e32 v74, v96, v36
	;; [unrolled: 1-line block ×4, first 2 shown]
	v_sub_f16_e32 v100, v75, v78
	v_add_f16_e32 v35, v95, v97
	v_add_f16_e32 v72, v72, v36
	v_fma_f16 v74, v74, -0.5, v94
	v_sub_f16_e32 v75, v87, v89
	v_fma_f16 v77, v77, -0.5, v85
	v_sub_f16_e32 v36, v96, v36
	v_pack_b32_f16 v80, v82, v80
	v_sub_f16_e32 v83, v29, v83
	v_add_f16_e32 v29, v30, v95
	v_fma_f16 v30, v35, -0.5, v30
	v_sub_f16_e32 v35, v86, v88
	v_fma_f16 v76, v75, s2, v74
	v_fma_f16 v74, v75, s3, v74
	v_fma_f16 v78, v36, s3, v77
	ds_write_b32 v41, v80 offset:1156
	v_pack_b32_f16 v80, v90, v92
	v_fma_f16 v70, v35, s2, v30
	v_fma_f16 v30, v35, s3, v30
	v_add_f16_e32 v35, v84, v86
	v_add_f16_e32 v75, v85, v87
	v_fma_f16 v36, v36, s2, v77
	v_mul_f16_e32 v77, 0x3aee, v78
	v_mul_f16_e32 v79, -0.5, v74
	ds_write_b32 v41, v80 offset:2312
	v_pack_b32_f16 v80, v93, v99
	v_add_f16_e32 v29, v29, v97
	v_add_f16_e32 v35, v35, v88
	;; [unrolled: 1-line block ×3, first 2 shown]
	v_fma_f16 v77, v76, 0.5, v77
	v_fma_f16 v79, v36, s2, v79
	v_mul_f16_e32 v76, 0xbaee, v76
	v_mul_f16_e32 v36, -0.5, v36
	ds_write_b32 v41, v80 offset:3468
	v_pack_b32_f16 v80, v98, v100
	v_add_f16_e32 v84, v29, v72
	v_add_f16_e32 v87, v35, v75
	v_fma_f16 v76, v78, 0.5, v76
	v_fma_f16 v36, v74, s3, v36
	v_sub_f16_e32 v97, v35, v75
	v_add_f16_e32 v35, v33, v37
	ds_write_b32 v41, v80 offset:4624
	v_pack_b32_f16 v80, v83, v101
	v_add_f16_e32 v85, v70, v77
	v_add_f16_e32 v88, v73, v76
	;; [unrolled: 1-line block ×3, first 2 shown]
	v_sub_f16_e32 v103, v71, v36
	v_fma_f16 v75, v35, -0.5, v31
	v_sub_f16_e32 v78, v40, v69
	v_add_f16_e32 v36, v40, v69
	v_pack_b32_f16 v81, v81, v91
	ds_write_b32 v41, v80 offset:5780
	v_pack_b32_f16 v80, v84, v87
	v_add_f16_e32 v86, v30, v79
	v_sub_f16_e32 v95, v70, v77
	v_sub_f16_e32 v96, v30, v79
	v_fma_f16 v35, v78, s3, v75
	v_fma_f16 v77, v36, -0.5, v38
	v_sub_f16_e32 v79, v33, v37
	ds_write2_b32 v41, v81, v80 offset1:102
	v_pack_b32_f16 v80, v85, v88
	v_sub_f16_e32 v94, v29, v72
	v_add_f16_e32 v29, v32, v34
	v_add_f16_e32 v30, v39, v68
	v_fma_f16 v36, v79, s2, v77
	v_mul_f16_e32 v71, -0.5, v35
	ds_write_b32 v41, v80 offset:1564
	v_pack_b32_f16 v80, v86, v89
	v_sub_f16_e32 v102, v73, v76
	v_fma_f16 v70, v29, -0.5, v66
	v_sub_f16_e32 v74, v39, v68
	v_fma_f16 v73, v30, -0.5, v67
	v_sub_f16_e32 v76, v32, v34
	v_fma_f16 v71, v36, s2, v71
	v_mul_f16_e32 v36, -0.5, v36
	ds_write_b32 v41, v80 offset:2720
	v_pack_b32_f16 v80, v94, v97
	v_fma_f16 v29, v74, s3, v70
	v_fma_f16 v30, v76, s2, v73
	;; [unrolled: 1-line block ×3, first 2 shown]
	ds_write_b32 v41, v80 offset:3876
	v_pack_b32_f16 v80, v95, v102
	v_sub_f16_e32 v35, v29, v71
	v_sub_f16_e32 v36, v30, v72
	ds_write_b32 v41, v80 offset:5032
	v_pack_b32_f16 v80, v96, v103
	ds_write_b32 v41, v80 offset:6188
	s_and_saveexec_b64 s[2:3], s[0:1]
	s_cbranch_execz .LBB0_5
; %bb.4:
	v_mul_f16_e32 v76, 0x3aee, v76
	v_mul_f16_e32 v78, 0x3aee, v78
	;; [unrolled: 1-line block ×3, first 2 shown]
	v_sub_f16_e32 v73, v73, v76
	v_sub_f16_e32 v76, v77, v79
	v_add_f16_e32 v75, v78, v75
	v_add_f16_e32 v39, v67, v39
	;; [unrolled: 1-line block ×5, first 2 shown]
	v_mul_f16_e32 v74, 0x3aee, v74
	v_mul_f16_e32 v77, 0x3aee, v75
	v_add_f16_e32 v39, v39, v68
	v_add_f16_e32 v38, v38, v69
	v_mul_f16_e32 v68, 0x3aee, v76
	v_add_f16_e32 v32, v32, v34
	v_add_f16_e32 v31, v31, v37
	v_add_f16_e32 v30, v30, v72
	v_add_f16_e32 v29, v29, v71
	v_fma_f16 v77, v76, 0.5, -v77
	v_sub_f16_e32 v40, v39, v38
	v_add_f16_e32 v67, v74, v70
	v_fma_f16 v68, v75, 0.5, v68
	v_sub_f16_e32 v33, v32, v31
	v_pack_b32_f16 v29, v29, v30
	v_sub_f16_e32 v78, v73, v77
	v_sub_f16_e32 v69, v67, v68
	v_add_f16_e32 v37, v39, v38
	v_add_f16_e32 v31, v32, v31
	ds_write_b32 v41, v29 offset:3128
	v_pack_b32_f16 v29, v33, v40
	v_add_f16_e32 v34, v73, v77
	v_add_f16_e32 v38, v67, v68
	v_pack_b32_f16 v31, v31, v37
	ds_write_b32 v41, v29 offset:4284
	v_pack_b32_f16 v29, v69, v78
	s_mov_b32 s6, 0x5040100
	ds_write_b32 v41, v31 offset:816
	v_pack_b32_f16 v31, v38, v34
	ds_write_b32 v41, v29 offset:5440
	v_perm_b32 v29, v36, v35, s6
	ds_write_b32 v41, v31 offset:1972
	ds_write_b32 v41, v29 offset:6596
.LBB0_5:
	s_or_b64 exec, exec, s[2:3]
	v_mov_b32_e32 v29, s13
	v_addc_co_u32_e32 v37, vcc, 0, v29, vcc
	v_add_co_u32_e32 v29, vcc, 0x1b18, v60
	s_mov_b64 s[2:3], vcc
	v_add_co_u32_e32 v30, vcc, 0x1000, v60
	v_addc_co_u32_e32 v31, vcc, 0, v37, vcc
	s_waitcnt lgkmcnt(0)
	s_barrier
	global_load_dword v38, v[30:31], off offset:2840
	v_addc_co_u32_e64 v30, vcc, 0, v37, s[2:3]
	global_load_dword v39, v[29:30], off offset:408
	global_load_dword v68, v[29:30], off offset:816
	;; [unrolled: 1-line block ×9, first 2 shown]
	s_movk_i32 s2, 0x2000
	v_add_co_u32_e32 v33, vcc, s2, v60
	s_movk_i32 s3, 0x3000
	v_addc_co_u32_e32 v34, vcc, 0, v37, vcc
	v_add_co_u32_e32 v66, vcc, s3, v60
	ds_read2_b32 v[31:32], v41 offset1:102
	v_addc_co_u32_e32 v67, vcc, 0, v37, vcc
	global_load_dword v76, v[33:34], off offset:3232
	global_load_dword v77, v[33:34], off offset:3640
	;; [unrolled: 1-line block ×6, first 2 shown]
	v_add_u32_e32 v40, 0x200, v41
	s_waitcnt lgkmcnt(0)
	v_lshrrev_b32_e32 v30, 16, v32
	v_lshrrev_b32_e32 v29, 16, v31
	v_add_u32_e32 v37, 0x400, v41
	s_mov_b32 s19, 0xb5c8
	s_movk_i32 s20, 0x3b76
	s_mov_b32 s14, 0xb964
	s_movk_i32 s15, 0x39e9
	;; [unrolled: 2-line block ×4, first 2 shown]
	s_mov_b32 s17, 0xbbb2
	s_mov_b32 s18, 0xb461
	;; [unrolled: 1-line block ×9, first 2 shown]
	s_movk_i32 s16, 0x3964
	s_movk_i32 s13, 0x3b29
	;; [unrolled: 1-line block ×8, first 2 shown]
	s_waitcnt vmcnt(14)
	v_mul_f16_sdwa v82, v32, v39 dst_sel:DWORD dst_unused:UNUSED_PAD src0_sel:DWORD src1_sel:WORD_1
	v_mul_f16_sdwa v60, v30, v39 dst_sel:DWORD dst_unused:UNUSED_PAD src0_sel:DWORD src1_sel:WORD_1
	v_fma_f16 v30, v30, v39, v82
	global_load_dword v82, v[66:67], off offset:1176
	v_mul_f16_sdwa v33, v29, v38 dst_sel:DWORD dst_unused:UNUSED_PAD src0_sel:DWORD src1_sel:WORD_1
	v_mul_f16_sdwa v34, v31, v38 dst_sel:DWORD dst_unused:UNUSED_PAD src0_sel:DWORD src1_sel:WORD_1
	v_fma_f16 v31, v31, v38, -v33
	v_fma_f16 v29, v29, v38, v34
	v_fma_f16 v32, v32, v39, -v60
	v_pack_b32_f16 v29, v31, v29
	v_pack_b32_f16 v30, v32, v30
	ds_write2_b32 v41, v29, v30 offset1:102
	ds_read2_b32 v[29:30], v40 offset0:76 offset1:178
	v_add_u32_e32 v38, 0x800, v41
	ds_read2_b32 v[31:32], v37 offset0:152 offset1:254
	ds_read2_b32 v[33:34], v38 offset0:100 offset1:202
	s_waitcnt lgkmcnt(2)
	v_lshrrev_b32_e32 v39, 16, v29
	s_waitcnt vmcnt(14)
	v_mul_f16_sdwa v60, v29, v68 dst_sel:DWORD dst_unused:UNUSED_PAD src0_sel:DWORD src1_sel:WORD_1
	v_lshrrev_b32_e32 v66, 16, v30
	s_waitcnt vmcnt(13)
	v_mul_f16_sdwa v67, v30, v69 dst_sel:DWORD dst_unused:UNUSED_PAD src0_sel:DWORD src1_sel:WORD_1
	s_waitcnt lgkmcnt(1)
	v_lshrrev_b32_e32 v83, 16, v31
	s_waitcnt vmcnt(12)
	v_mul_f16_sdwa v84, v31, v70 dst_sel:DWORD dst_unused:UNUSED_PAD src0_sel:DWORD src1_sel:WORD_1
	v_lshrrev_b32_e32 v85, 16, v32
	v_mul_f16_sdwa v90, v39, v68 dst_sel:DWORD dst_unused:UNUSED_PAD src0_sel:DWORD src1_sel:WORD_1
	v_fma_f16 v39, v39, v68, v60
	v_mul_f16_sdwa v60, v66, v69 dst_sel:DWORD dst_unused:UNUSED_PAD src0_sel:DWORD src1_sel:WORD_1
	s_waitcnt vmcnt(11)
	v_mul_f16_sdwa v86, v32, v71 dst_sel:DWORD dst_unused:UNUSED_PAD src0_sel:DWORD src1_sel:WORD_1
	v_fma_f16 v66, v66, v69, v67
	v_mul_f16_sdwa v67, v83, v70 dst_sel:DWORD dst_unused:UNUSED_PAD src0_sel:DWORD src1_sel:WORD_1
	v_fma_f16 v83, v83, v70, v84
	v_mul_f16_sdwa v84, v85, v71 dst_sel:DWORD dst_unused:UNUSED_PAD src0_sel:DWORD src1_sel:WORD_1
	v_fma_f16 v29, v29, v68, -v90
	v_fma_f16 v30, v30, v69, -v60
	v_fma_f16 v85, v85, v71, v86
	v_fma_f16 v31, v31, v70, -v67
	v_fma_f16 v32, v32, v71, -v84
	v_pack_b32_f16 v29, v29, v39
	v_pack_b32_f16 v30, v30, v66
	;; [unrolled: 1-line block ×4, first 2 shown]
	ds_write2_b32 v40, v29, v30 offset0:76 offset1:178
	ds_write2_b32 v37, v31, v32 offset0:152 offset1:254
	v_add_u32_e32 v39, 0xc00, v41
	ds_read2_b32 v[29:30], v39 offset0:48 offset1:150
	s_waitcnt lgkmcnt(3)
	v_lshrrev_b32_e32 v87, 16, v33
	s_waitcnt vmcnt(10)
	v_mul_f16_sdwa v88, v33, v72 dst_sel:DWORD dst_unused:UNUSED_PAD src0_sel:DWORD src1_sel:WORD_1
	v_lshrrev_b32_e32 v89, 16, v34
	v_mul_f16_sdwa v86, v87, v72 dst_sel:DWORD dst_unused:UNUSED_PAD src0_sel:DWORD src1_sel:WORD_1
	v_fma_f16 v87, v87, v72, v88
	s_waitcnt vmcnt(9)
	v_mul_f16_sdwa v88, v89, v73 dst_sel:DWORD dst_unused:UNUSED_PAD src0_sel:DWORD src1_sel:WORD_1
	v_mul_f16_sdwa v32, v34, v73 dst_sel:DWORD dst_unused:UNUSED_PAD src0_sel:DWORD src1_sel:WORD_1
	v_fma_f16 v33, v33, v72, -v86
	v_fma_f16 v31, v34, v73, -v88
	v_fma_f16 v32, v89, v73, v32
	v_pack_b32_f16 v33, v33, v87
	v_pack_b32_f16 v31, v31, v32
	ds_write2_b32 v38, v33, v31 offset0:100 offset1:202
	s_waitcnt lgkmcnt(1)
	v_lshrrev_b32_e32 v31, 16, v29
	s_waitcnt vmcnt(8)
	v_mul_f16_sdwa v32, v31, v74 dst_sel:DWORD dst_unused:UNUSED_PAD src0_sel:DWORD src1_sel:WORD_1
	v_fma_f16 v32, v29, v74, -v32
	v_mul_f16_sdwa v29, v29, v74 dst_sel:DWORD dst_unused:UNUSED_PAD src0_sel:DWORD src1_sel:WORD_1
	v_lshrrev_b32_e32 v33, 16, v30
	v_fma_f16 v29, v31, v74, v29
	s_waitcnt vmcnt(7)
	v_mul_f16_sdwa v31, v33, v75 dst_sel:DWORD dst_unused:UNUSED_PAD src0_sel:DWORD src1_sel:WORD_1
	v_add_u32_e32 v60, 0xe00, v41
	v_pack_b32_f16 v29, v32, v29
	v_fma_f16 v34, v30, v75, -v31
	ds_read2_b32 v[31:32], v60 offset0:124 offset1:226
	v_mul_f16_sdwa v30, v30, v75 dst_sel:DWORD dst_unused:UNUSED_PAD src0_sel:DWORD src1_sel:WORD_1
	v_fma_f16 v30, v33, v75, v30
	v_pack_b32_f16 v30, v34, v30
	ds_write2_b32 v39, v29, v30 offset0:48 offset1:150
	s_waitcnt lgkmcnt(1)
	v_lshrrev_b32_e32 v29, 16, v31
	s_waitcnt vmcnt(1)
	v_mul_f16_sdwa v30, v29, v81 dst_sel:DWORD dst_unused:UNUSED_PAD src0_sel:DWORD src1_sel:WORD_1
	v_fma_f16 v30, v31, v81, -v30
	v_mul_f16_sdwa v31, v31, v81 dst_sel:DWORD dst_unused:UNUSED_PAD src0_sel:DWORD src1_sel:WORD_1
	v_fma_f16 v29, v29, v81, v31
	v_lshrrev_b32_e32 v33, 16, v32
	v_pack_b32_f16 v31, v30, v29
	v_mul_f16_sdwa v29, v33, v76 dst_sel:DWORD dst_unused:UNUSED_PAD src0_sel:DWORD src1_sel:WORD_1
	v_add_u32_e32 v66, 0x1200, v41
	v_fma_f16 v34, v32, v76, -v29
	ds_read2_b32 v[29:30], v66 offset0:72 offset1:174
	v_mul_f16_sdwa v32, v32, v76 dst_sel:DWORD dst_unused:UNUSED_PAD src0_sel:DWORD src1_sel:WORD_1
	v_fma_f16 v32, v33, v76, v32
	v_pack_b32_f16 v32, v34, v32
	ds_write2_b32 v60, v31, v32 offset0:124 offset1:226
	s_waitcnt lgkmcnt(1)
	v_lshrrev_b32_e32 v31, 16, v29
	v_mul_f16_sdwa v32, v31, v77 dst_sel:DWORD dst_unused:UNUSED_PAD src0_sel:DWORD src1_sel:WORD_1
	v_fma_f16 v32, v29, v77, -v32
	v_mul_f16_sdwa v29, v29, v77 dst_sel:DWORD dst_unused:UNUSED_PAD src0_sel:DWORD src1_sel:WORD_1
	v_lshrrev_b32_e32 v33, 16, v30
	v_fma_f16 v29, v31, v77, v29
	v_mul_f16_sdwa v31, v33, v78 dst_sel:DWORD dst_unused:UNUSED_PAD src0_sel:DWORD src1_sel:WORD_1
	v_add_u32_e32 v67, 0x1400, v41
	v_pack_b32_f16 v29, v32, v29
	v_fma_f16 v34, v30, v78, -v31
	ds_read2_b32 v[31:32], v67 offset0:148 offset1:250
	v_mul_f16_sdwa v30, v30, v78 dst_sel:DWORD dst_unused:UNUSED_PAD src0_sel:DWORD src1_sel:WORD_1
	v_fma_f16 v30, v33, v78, v30
	v_pack_b32_f16 v30, v34, v30
	ds_write2_b32 v66, v29, v30 offset0:72 offset1:174
	s_waitcnt lgkmcnt(1)
	v_lshrrev_b32_e32 v29, 16, v31
	v_mul_f16_sdwa v30, v29, v79 dst_sel:DWORD dst_unused:UNUSED_PAD src0_sel:DWORD src1_sel:WORD_1
	v_fma_f16 v30, v31, v79, -v30
	v_mul_f16_sdwa v31, v31, v79 dst_sel:DWORD dst_unused:UNUSED_PAD src0_sel:DWORD src1_sel:WORD_1
	v_fma_f16 v29, v29, v79, v31
	v_pack_b32_f16 v29, v30, v29
	v_lshrrev_b32_e32 v30, 16, v32
	ds_read_b32 v33, v41 offset:6528
	v_mul_f16_sdwa v31, v30, v80 dst_sel:DWORD dst_unused:UNUSED_PAD src0_sel:DWORD src1_sel:WORD_1
	v_fma_f16 v31, v32, v80, -v31
	v_mul_f16_sdwa v32, v32, v80 dst_sel:DWORD dst_unused:UNUSED_PAD src0_sel:DWORD src1_sel:WORD_1
	v_fma_f16 v30, v30, v80, v32
	v_pack_b32_f16 v30, v31, v30
	ds_write2_b32 v67, v29, v30 offset0:148 offset1:250
	s_waitcnt lgkmcnt(1)
	v_lshrrev_b32_e32 v29, 16, v33
	s_waitcnt vmcnt(0)
	v_mul_f16_sdwa v30, v29, v82 dst_sel:DWORD dst_unused:UNUSED_PAD src0_sel:DWORD src1_sel:WORD_1
	v_mul_f16_sdwa v31, v33, v82 dst_sel:DWORD dst_unused:UNUSED_PAD src0_sel:DWORD src1_sel:WORD_1
	v_fma_f16 v30, v33, v82, -v30
	v_fma_f16 v29, v29, v82, v31
	v_pack_b32_f16 v29, v30, v29
	ds_write_b32 v41, v29 offset:6528
	s_waitcnt lgkmcnt(0)
	s_barrier
	ds_read2_b32 v[69:70], v41 offset1:102
	ds_read2_b32 v[31:32], v38 offset0:100 offset1:202
	ds_read2_b32 v[29:30], v39 offset0:48 offset1:150
	ds_read2_b32 v[33:34], v60 offset0:124 offset1:226
	ds_read2_b32 v[71:72], v66 offset0:72 offset1:174
	ds_read2_b32 v[73:74], v40 offset0:76 offset1:178
	ds_read2_b32 v[75:76], v67 offset0:148 offset1:250
	ds_read2_b32 v[77:78], v37 offset0:152 offset1:254
	ds_read_b32 v79, v41 offset:6528
	s_waitcnt lgkmcnt(8)
	v_pk_add_f16 v68, v69, v70
	s_waitcnt lgkmcnt(3)
	v_pk_add_f16 v68, v68, v73
	v_pk_add_f16 v68, v68, v74
	s_waitcnt lgkmcnt(1)
	v_pk_add_f16 v68, v68, v77
	v_pk_add_f16 v68, v68, v78
	v_pk_add_f16 v68, v68, v31
	v_pk_add_f16 v68, v68, v32
	v_pk_add_f16 v68, v68, v29
	v_pk_add_f16 v68, v68, v30
	v_pk_add_f16 v68, v68, v33
	v_pk_add_f16 v68, v68, v34
	v_pk_add_f16 v68, v68, v71
	v_pk_add_f16 v68, v68, v72
	v_pk_add_f16 v68, v68, v75
	v_pk_add_f16 v68, v68, v76
	s_waitcnt lgkmcnt(0)
	v_pk_add_f16 v80, v79, v70
	v_pk_add_f16 v70, v70, v79 neg_lo:[0,1] neg_hi:[0,1]
	v_pk_add_f16 v68, v68, v79
	v_pk_mul_f16 v79, v70, s19 op_sel_hi:[1,0]
	v_pk_fma_f16 v81, v80, s20, v79 op_sel:[0,0,1] op_sel_hi:[1,0,0]
	v_pk_fma_f16 v79, v80, s20, v79 op_sel:[0,0,1] op_sel_hi:[1,0,0] neg_lo:[0,0,1] neg_hi:[0,0,1]
	v_mul_f16_sdwa v83, v70, s14 dst_sel:DWORD dst_unused:UNUSED_PAD src0_sel:WORD_1 src1_sel:DWORD
	v_mul_f16_sdwa v85, v80, s15 dst_sel:DWORD dst_unused:UNUSED_PAD src0_sel:WORD_1 src1_sel:DWORD
	;; [unrolled: 1-line block ×14, first 2 shown]
	v_bfi_b32 v82, s33, v81, v79
	v_fma_f16 v84, v80, s15, v83
	v_fma_f16 v86, v70, s16, v85
	v_fma_f16 v83, v80, s15, -v83
	v_fma_f16 v85, v70, s14, v85
	v_fma_f16 v88, v80, s12, v87
	v_fma_f16 v90, v70, s13, v89
	v_fma_f16 v87, v80, s12, -v87
	v_fma_f16 v89, v70, s7, v89
	;; [unrolled: 4-line block ×7, first 2 shown]
	v_pk_add_f16 v82, v69, v82
	v_pk_add_f16 v79, v69, v79
	;; [unrolled: 1-line block ×3, first 2 shown]
	v_add_f16_e32 v84, v69, v84
	v_add_f16_sdwa v86, v69, v86 dst_sel:DWORD dst_unused:UNUSED_PAD src0_sel:WORD_1 src1_sel:DWORD
	v_add_f16_e32 v83, v69, v83
	v_add_f16_sdwa v85, v69, v85 dst_sel:DWORD dst_unused:UNUSED_PAD src0_sel:WORD_1 src1_sel:DWORD
	;; [unrolled: 2-line block ×14, first 2 shown]
	v_pk_add_f16 v70, v76, v73
	v_pk_add_f16 v73, v73, v76 neg_lo:[0,1] neg_hi:[0,1]
	v_pk_mul_f16 v76, v73, s14 op_sel_hi:[1,0]
	v_pk_fma_f16 v107, v70, s15, v76 op_sel:[0,0,1] op_sel_hi:[1,0,0]
	v_pk_fma_f16 v76, v70, s15, v76 op_sel:[0,0,1] op_sel_hi:[1,0,0] neg_lo:[0,0,1] neg_hi:[0,0,1]
	v_bfi_b32 v109, s33, v107, v76
	v_pk_add_f16 v76, v76, v79
	v_pk_add_f16 v79, v107, v81
	v_mul_f16_sdwa v81, v73, s2 dst_sel:DWORD dst_unused:UNUSED_PAD src0_sel:WORD_1 src1_sel:DWORD
	v_fma_f16 v107, v70, s3, v81
	v_add_f16_e32 v84, v107, v84
	v_mul_f16_sdwa v107, v70, s3 dst_sel:DWORD dst_unused:UNUSED_PAD src0_sel:WORD_1 src1_sel:DWORD
	v_fma_f16 v81, v70, s3, -v81
	v_add_f16_e32 v81, v81, v83
	v_fma_f16 v83, v73, s2, v107
	v_add_f16_e32 v83, v83, v85
	v_mul_f16_sdwa v85, v73, s22 dst_sel:DWORD dst_unused:UNUSED_PAD src0_sel:WORD_1 src1_sel:DWORD
	v_pk_add_f16 v82, v109, v82
	v_fma_f16 v109, v73, s6, v107
	v_fma_f16 v107, v70, s23, v85
	v_add_f16_e32 v88, v107, v88
	v_mul_f16_sdwa v107, v70, s23 dst_sel:DWORD dst_unused:UNUSED_PAD src0_sel:WORD_1 src1_sel:DWORD
	v_fma_f16 v85, v70, s23, -v85
	v_add_f16_e32 v85, v85, v87
	v_fma_f16 v87, v73, s22, v107
	v_add_f16_e32 v87, v87, v89
	v_mul_f16_sdwa v89, v73, s28 dst_sel:DWORD dst_unused:UNUSED_PAD src0_sel:WORD_1 src1_sel:DWORD
	v_add_f16_e32 v86, v109, v86
	v_fma_f16 v109, v73, s24, v107
	v_fma_f16 v107, v70, s29, v89
	v_add_f16_e32 v92, v107, v92
	v_mul_f16_sdwa v107, v70, s29 dst_sel:DWORD dst_unused:UNUSED_PAD src0_sel:WORD_1 src1_sel:DWORD
	v_fma_f16 v89, v70, s29, -v89
	v_add_f16_e32 v89, v89, v91
	v_fma_f16 v91, v73, s28, v107
	v_add_f16_e32 v91, v91, v93
	v_mul_f16_sdwa v93, v73, s27 dst_sel:DWORD dst_unused:UNUSED_PAD src0_sel:WORD_1 src1_sel:DWORD
	v_add_f16_e32 v90, v109, v90
	;; [unrolled: 10-line block ×5, first 2 shown]
	v_fma_f16 v109, v73, s7, v107
	v_fma_f16 v107, v70, s20, v105
	v_add_f16_e32 v107, v107, v108
	v_mul_f16_sdwa v108, v70, s20 dst_sel:DWORD dst_unused:UNUSED_PAD src0_sel:WORD_1 src1_sel:DWORD
	v_add_f16_e32 v106, v109, v106
	v_fma_f16 v109, v73, s19, v108
	v_fma_f16 v73, v73, s31, v108
	v_add_f16_e32 v69, v73, v69
	v_pk_add_f16 v73, v75, v74
	v_pk_add_f16 v74, v74, v75 neg_lo:[0,1] neg_hi:[0,1]
	v_fma_f16 v70, v70, s20, -v105
	v_pk_mul_f16 v75, v74, s7 op_sel_hi:[1,0]
	v_add_f16_e32 v70, v70, v80
	v_pk_fma_f16 v80, v73, s12, v75 op_sel:[0,0,1] op_sel_hi:[1,0,0]
	v_pk_fma_f16 v75, v73, s12, v75 op_sel:[0,0,1] op_sel_hi:[1,0,0] neg_lo:[0,0,1] neg_hi:[0,0,1]
	v_bfi_b32 v105, s33, v80, v75
	v_pk_add_f16 v75, v75, v76
	v_pk_add_f16 v76, v80, v79
	v_mul_f16_sdwa v79, v74, s22 dst_sel:DWORD dst_unused:UNUSED_PAD src0_sel:WORD_1 src1_sel:DWORD
	v_fma_f16 v80, v73, s23, v79
	v_add_f16_e32 v80, v80, v84
	v_mul_f16_sdwa v84, v73, s23 dst_sel:DWORD dst_unused:UNUSED_PAD src0_sel:WORD_1 src1_sel:DWORD
	v_fma_f16 v79, v73, s23, -v79
	v_add_f16_e32 v79, v79, v81
	v_fma_f16 v81, v74, s22, v84
	v_add_f16_e32 v81, v81, v83
	v_mul_f16_sdwa v83, v74, s30 dst_sel:DWORD dst_unused:UNUSED_PAD src0_sel:WORD_1 src1_sel:DWORD
	v_pk_add_f16 v82, v105, v82
	v_fma_f16 v105, v74, s24, v84
	v_fma_f16 v84, v73, s29, v83
	v_add_f16_e32 v84, v84, v88
	v_mul_f16_sdwa v88, v73, s29 dst_sel:DWORD dst_unused:UNUSED_PAD src0_sel:WORD_1 src1_sel:DWORD
	v_fma_f16 v83, v73, s29, -v83
	v_add_f16_e32 v83, v83, v85
	v_fma_f16 v85, v74, s30, v88
	v_add_f16_e32 v85, v85, v87
	v_mul_f16_sdwa v87, v74, s21 dst_sel:DWORD dst_unused:UNUSED_PAD src0_sel:WORD_1 src1_sel:DWORD
	v_add_f16_e32 v86, v105, v86
	v_fma_f16 v105, v74, s28, v88
	v_fma_f16 v88, v73, s18, v87
	v_add_f16_e32 v88, v88, v92
	v_mul_f16_sdwa v92, v73, s18 dst_sel:DWORD dst_unused:UNUSED_PAD src0_sel:WORD_1 src1_sel:DWORD
	v_fma_f16 v87, v73, s18, -v87
	v_add_f16_e32 v87, v87, v89
	v_fma_f16 v89, v74, s21, v92
	v_add_f16_e32 v89, v89, v91
	v_mul_f16_sdwa v91, v74, s16 dst_sel:DWORD dst_unused:UNUSED_PAD src0_sel:WORD_1 src1_sel:DWORD
	v_add_f16_e32 v90, v105, v90
	;; [unrolled: 10-line block ×4, first 2 shown]
	v_fma_f16 v105, v74, s31, v100
	v_fma_f16 v100, v73, s3, v99
	v_add_f16_e32 v100, v100, v104
	v_mul_f16_sdwa v104, v73, s3 dst_sel:DWORD dst_unused:UNUSED_PAD src0_sel:WORD_1 src1_sel:DWORD
	v_fma_f16 v99, v73, s3, -v99
	v_add_f16_e32 v99, v99, v101
	v_fma_f16 v101, v74, s2, v104
	v_add_f16_e32 v102, v105, v102
	v_fma_f16 v105, v74, s6, v104
	v_add_f16_e32 v101, v101, v103
	v_mul_f16_sdwa v103, v74, s25 dst_sel:DWORD dst_unused:UNUSED_PAD src0_sel:WORD_1 src1_sel:DWORD
	v_add_f16_e32 v105, v105, v106
	v_fma_f16 v104, v73, s26, v103
	v_mul_f16_sdwa v106, v73, s26 dst_sel:DWORD dst_unused:UNUSED_PAD src0_sel:WORD_1 src1_sel:DWORD
	v_fma_f16 v73, v73, s26, -v103
	v_add_f16_e32 v70, v73, v70
	v_fma_f16 v73, v74, s25, v106
	v_add_f16_e32 v69, v73, v69
	v_pk_add_f16 v73, v72, v77
	v_pk_add_f16 v72, v77, v72 neg_lo:[0,1] neg_hi:[0,1]
	v_add_f16_e32 v104, v104, v107
	v_fma_f16 v107, v74, s27, v106
	v_pk_mul_f16 v74, v72, s2 op_sel_hi:[1,0]
	v_pk_fma_f16 v77, v73, s3, v74 op_sel:[0,0,1] op_sel_hi:[1,0,0]
	v_pk_fma_f16 v74, v73, s3, v74 op_sel:[0,0,1] op_sel_hi:[1,0,0] neg_lo:[0,0,1] neg_hi:[0,0,1]
	v_bfi_b32 v103, s33, v77, v74
	v_pk_add_f16 v74, v74, v75
	v_pk_add_f16 v75, v77, v76
	v_mul_f16_sdwa v76, v72, s28 dst_sel:DWORD dst_unused:UNUSED_PAD src0_sel:WORD_1 src1_sel:DWORD
	v_fma_f16 v77, v73, s29, v76
	v_add_f16_e32 v77, v77, v80
	v_mul_f16_sdwa v80, v73, s29 dst_sel:DWORD dst_unused:UNUSED_PAD src0_sel:WORD_1 src1_sel:DWORD
	v_fma_f16 v76, v73, s29, -v76
	v_pk_add_f16 v82, v103, v82
	v_fma_f16 v103, v72, s30, v80
	v_add_f16_e32 v76, v76, v79
	v_fma_f16 v79, v72, s28, v80
	v_mul_f16_sdwa v80, v72, s21 dst_sel:DWORD dst_unused:UNUSED_PAD src0_sel:WORD_1 src1_sel:DWORD
	v_add_f16_e32 v79, v79, v81
	v_fma_f16 v81, v73, s18, v80
	v_add_f16_e32 v81, v81, v84
	v_mul_f16_sdwa v84, v73, s18 dst_sel:DWORD dst_unused:UNUSED_PAD src0_sel:WORD_1 src1_sel:DWORD
	v_fma_f16 v80, v73, s18, -v80
	v_add_f16_e32 v86, v103, v86
	v_fma_f16 v103, v72, s17, v84
	v_add_f16_e32 v80, v80, v83
	v_fma_f16 v83, v72, s21, v84
	v_mul_f16_sdwa v84, v72, s31 dst_sel:DWORD dst_unused:UNUSED_PAD src0_sel:WORD_1 src1_sel:DWORD
	v_add_f16_e32 v83, v83, v85
	v_fma_f16 v85, v73, s20, v84
	v_add_f16_e32 v85, v85, v88
	v_mul_f16_sdwa v88, v73, s20 dst_sel:DWORD dst_unused:UNUSED_PAD src0_sel:WORD_1 src1_sel:DWORD
	v_fma_f16 v84, v73, s20, -v84
	v_add_f16_e32 v90, v103, v90
	;; [unrolled: 10-line block ×5, first 2 shown]
	v_fma_f16 v103, v72, s22, v100
	v_add_f16_e32 v96, v96, v99
	v_fma_f16 v99, v72, s24, v100
	v_mul_f16_sdwa v100, v72, s16 dst_sel:DWORD dst_unused:UNUSED_PAD src0_sel:WORD_1 src1_sel:DWORD
	v_add_f16_e32 v99, v99, v101
	v_fma_f16 v101, v73, s15, v100
	v_add_f16_e32 v101, v101, v104
	v_mul_f16_sdwa v104, v73, s15 dst_sel:DWORD dst_unused:UNUSED_PAD src0_sel:WORD_1 src1_sel:DWORD
	v_add_f16_e32 v103, v103, v105
	v_fma_f16 v105, v72, s14, v104
	v_fma_f16 v72, v72, s16, v104
	v_fma_f16 v73, v73, s15, -v100
	v_add_f16_e32 v69, v72, v69
	v_pk_add_f16 v72, v71, v78
	v_pk_add_f16 v71, v78, v71 neg_lo:[0,1] neg_hi:[0,1]
	v_add_f16_e32 v70, v73, v70
	v_pk_mul_f16 v73, v71, s17 op_sel_hi:[1,0]
	v_pk_fma_f16 v78, v72, s18, v73 op_sel:[0,0,1] op_sel_hi:[1,0,0]
	v_pk_fma_f16 v73, v72, s18, v73 op_sel:[0,0,1] op_sel_hi:[1,0,0] neg_lo:[0,0,1] neg_hi:[0,0,1]
	v_bfi_b32 v100, s33, v78, v73
	v_pk_add_f16 v73, v73, v74
	v_pk_add_f16 v74, v78, v75
	v_mul_f16_sdwa v75, v71, s27 dst_sel:DWORD dst_unused:UNUSED_PAD src0_sel:WORD_1 src1_sel:DWORD
	v_fma_f16 v78, v72, s26, v75
	v_add_f16_e32 v77, v78, v77
	v_mul_f16_sdwa v78, v72, s26 dst_sel:DWORD dst_unused:UNUSED_PAD src0_sel:WORD_1 src1_sel:DWORD
	v_fma_f16 v75, v72, s26, -v75
	v_pk_add_f16 v82, v100, v82
	v_fma_f16 v100, v71, s25, v78
	v_add_f16_e32 v75, v75, v76
	v_fma_f16 v76, v71, s27, v78
	v_mul_f16_sdwa v78, v71, s16 dst_sel:DWORD dst_unused:UNUSED_PAD src0_sel:WORD_1 src1_sel:DWORD
	v_add_f16_e32 v76, v76, v79
	v_fma_f16 v79, v72, s15, v78
	v_add_f16_e32 v79, v79, v81
	v_mul_f16_sdwa v81, v72, s15 dst_sel:DWORD dst_unused:UNUSED_PAD src0_sel:WORD_1 src1_sel:DWORD
	v_fma_f16 v78, v72, s15, -v78
	v_add_f16_e32 v86, v100, v86
	v_fma_f16 v100, v71, s14, v81
	v_add_f16_e32 v78, v78, v80
	v_fma_f16 v80, v71, s16, v81
	v_mul_f16_sdwa v81, v71, s7 dst_sel:DWORD dst_unused:UNUSED_PAD src0_sel:WORD_1 src1_sel:DWORD
	v_add_f16_e32 v80, v80, v83
	v_fma_f16 v83, v72, s12, v81
	v_add_f16_e32 v83, v83, v85
	v_mul_f16_sdwa v85, v72, s12 dst_sel:DWORD dst_unused:UNUSED_PAD src0_sel:WORD_1 src1_sel:DWORD
	v_fma_f16 v81, v72, s12, -v81
	v_add_f16_e32 v90, v100, v90
	v_fma_f16 v100, v71, s13, v85
	v_add_f16_e32 v81, v81, v84
	v_fma_f16 v84, v71, s7, v85
	v_mul_f16_sdwa v85, v71, s28 dst_sel:DWORD dst_unused:UNUSED_PAD src0_sel:WORD_1 src1_sel:DWORD
	v_add_f16_e32 v84, v84, v87
	v_fma_f16 v87, v72, s29, v85
	v_add_f16_e32 v87, v87, v89
	v_mul_f16_sdwa v89, v72, s29 dst_sel:DWORD dst_unused:UNUSED_PAD src0_sel:WORD_1 src1_sel:DWORD
	v_fma_f16 v85, v72, s29, -v85
	v_add_f16_e32 v94, v100, v94
	v_fma_f16 v100, v71, s30, v89
	v_add_f16_e32 v85, v85, v88
	v_fma_f16 v88, v71, s28, v89
	v_mul_f16_sdwa v89, v71, s6 dst_sel:DWORD dst_unused:UNUSED_PAD src0_sel:WORD_1 src1_sel:DWORD
	v_add_f16_e32 v88, v88, v91
	v_fma_f16 v91, v72, s3, v89
	v_add_f16_e32 v91, v91, v93
	v_mul_f16_sdwa v93, v72, s3 dst_sel:DWORD dst_unused:UNUSED_PAD src0_sel:WORD_1 src1_sel:DWORD
	v_fma_f16 v89, v72, s3, -v89
	v_add_f16_e32 v98, v100, v98
	v_fma_f16 v100, v71, s2, v93
	v_add_f16_e32 v89, v89, v92
	v_fma_f16 v92, v71, s6, v93
	v_mul_f16_sdwa v93, v71, s19 dst_sel:DWORD dst_unused:UNUSED_PAD src0_sel:WORD_1 src1_sel:DWORD
	v_add_f16_e32 v92, v92, v95
	v_fma_f16 v95, v72, s20, v93
	v_add_f16_e32 v95, v95, v97
	v_mul_f16_sdwa v97, v72, s20 dst_sel:DWORD dst_unused:UNUSED_PAD src0_sel:WORD_1 src1_sel:DWORD
	v_fma_f16 v93, v72, s20, -v93
	v_add_f16_e32 v100, v100, v102
	v_fma_f16 v102, v71, s31, v97
	v_add_f16_e32 v93, v93, v96
	v_fma_f16 v96, v71, s19, v97
	v_mul_f16_sdwa v97, v71, s22 dst_sel:DWORD dst_unused:UNUSED_PAD src0_sel:WORD_1 src1_sel:DWORD
	v_add_f16_e32 v96, v96, v99
	v_fma_f16 v99, v72, s23, v97
	v_add_f16_e32 v99, v99, v101
	v_mul_f16_sdwa v101, v72, s23 dst_sel:DWORD dst_unused:UNUSED_PAD src0_sel:WORD_1 src1_sel:DWORD
	v_add_f16_e32 v102, v102, v103
	v_fma_f16 v103, v71, s24, v101
	v_fma_f16 v71, v71, s22, v101
	v_add_f16_e32 v69, v71, v69
	v_pk_add_f16 v71, v34, v31
	v_pk_add_f16 v31, v31, v34 neg_lo:[0,1] neg_hi:[0,1]
	v_fma_f16 v72, v72, s23, -v97
	v_pk_mul_f16 v34, v31, s22 op_sel_hi:[1,0]
	v_add_f16_e32 v70, v72, v70
	v_pk_fma_f16 v72, v71, s23, v34 op_sel:[0,0,1] op_sel_hi:[1,0,0]
	v_pk_fma_f16 v34, v71, s23, v34 op_sel:[0,0,1] op_sel_hi:[1,0,0] neg_lo:[0,0,1] neg_hi:[0,0,1]
	v_bfi_b32 v97, s33, v72, v34
	v_pk_add_f16 v34, v34, v73
	v_mul_f16_sdwa v73, v31, s21 dst_sel:DWORD dst_unused:UNUSED_PAD src0_sel:WORD_1 src1_sel:DWORD
	v_pk_add_f16 v72, v72, v74
	v_fma_f16 v74, v71, s18, v73
	v_add_f16_e32 v74, v74, v77
	v_mul_f16_sdwa v77, v71, s18 dst_sel:DWORD dst_unused:UNUSED_PAD src0_sel:WORD_1 src1_sel:DWORD
	v_fma_f16 v73, v71, s18, -v73
	v_add_f16_e32 v73, v73, v75
	v_fma_f16 v75, v31, s21, v77
	v_add_f16_e32 v75, v75, v76
	v_mul_f16_sdwa v76, v31, s19 dst_sel:DWORD dst_unused:UNUSED_PAD src0_sel:WORD_1 src1_sel:DWORD
	v_pk_add_f16 v82, v97, v82
	v_fma_f16 v97, v31, s17, v77
	v_fma_f16 v77, v71, s20, v76
	v_add_f16_e32 v77, v77, v79
	v_mul_f16_sdwa v79, v71, s20 dst_sel:DWORD dst_unused:UNUSED_PAD src0_sel:WORD_1 src1_sel:DWORD
	v_fma_f16 v76, v71, s20, -v76
	v_add_f16_e32 v86, v97, v86
	v_fma_f16 v97, v31, s31, v79
	v_add_f16_e32 v76, v76, v78
	v_fma_f16 v78, v31, s19, v79
	v_mul_f16_sdwa v79, v31, s25 dst_sel:DWORD dst_unused:UNUSED_PAD src0_sel:WORD_1 src1_sel:DWORD
	v_add_f16_e32 v78, v78, v80
	v_fma_f16 v80, v71, s26, v79
	v_add_f16_e32 v80, v80, v83
	v_mul_f16_sdwa v83, v71, s26 dst_sel:DWORD dst_unused:UNUSED_PAD src0_sel:WORD_1 src1_sel:DWORD
	v_fma_f16 v79, v71, s26, -v79
	v_add_f16_e32 v90, v97, v90
	v_fma_f16 v97, v31, s27, v83
	v_add_f16_e32 v79, v79, v81
	v_fma_f16 v81, v31, s25, v83
	v_mul_f16_sdwa v83, v31, s6 dst_sel:DWORD dst_unused:UNUSED_PAD src0_sel:WORD_1 src1_sel:DWORD
	v_add_f16_e32 v81, v81, v84
	;; [unrolled: 10-line block ×5, first 2 shown]
	v_fma_f16 v96, v71, s12, v95
	v_add_f16_e32 v96, v96, v99
	v_mul_f16_sdwa v99, v71, s12 dst_sel:DWORD dst_unused:UNUSED_PAD src0_sel:WORD_1 src1_sel:DWORD
	v_fma_f16 v101, v31, s7, v99
	v_fma_f16 v31, v31, s13, v99
	v_add_f16_e32 v31, v31, v69
	v_pk_add_f16 v69, v33, v32
	v_pk_add_f16 v32, v32, v33 neg_lo:[0,1] neg_hi:[0,1]
	v_fma_f16 v71, v71, s12, -v95
	v_pk_mul_f16 v33, v32, s25 op_sel_hi:[1,0]
	v_add_f16_e32 v70, v71, v70
	v_pk_fma_f16 v71, v69, s26, v33 op_sel:[0,0,1] op_sel_hi:[1,0,0]
	v_pk_fma_f16 v33, v69, s26, v33 op_sel:[0,0,1] op_sel_hi:[1,0,0] neg_lo:[0,0,1] neg_hi:[0,0,1]
	v_bfi_b32 v95, s33, v71, v33
	v_pk_add_f16 v33, v33, v34
	v_pk_add_f16 v34, v71, v72
	v_mul_f16_sdwa v71, v32, s13 dst_sel:DWORD dst_unused:UNUSED_PAD src0_sel:WORD_1 src1_sel:DWORD
	v_fma_f16 v72, v69, s12, v71
	v_add_f16_e32 v72, v72, v74
	v_mul_f16_sdwa v74, v69, s12 dst_sel:DWORD dst_unused:UNUSED_PAD src0_sel:WORD_1 src1_sel:DWORD
	v_fma_f16 v71, v69, s12, -v71
	v_pk_add_f16 v82, v95, v82
	v_fma_f16 v95, v32, s7, v74
	v_add_f16_e32 v71, v71, v73
	v_fma_f16 v73, v32, s13, v74
	v_mul_f16_sdwa v74, v32, s2 dst_sel:DWORD dst_unused:UNUSED_PAD src0_sel:WORD_1 src1_sel:DWORD
	v_add_f16_e32 v73, v73, v75
	v_fma_f16 v75, v69, s3, v74
	v_add_f16_e32 v75, v75, v77
	v_mul_f16_sdwa v77, v69, s3 dst_sel:DWORD dst_unused:UNUSED_PAD src0_sel:WORD_1 src1_sel:DWORD
	v_fma_f16 v74, v69, s3, -v74
	v_add_f16_e32 v86, v95, v86
	v_fma_f16 v95, v32, s6, v77
	v_add_f16_e32 v74, v74, v76
	v_fma_f16 v76, v32, s2, v77
	v_mul_f16_sdwa v77, v32, s24 dst_sel:DWORD dst_unused:UNUSED_PAD src0_sel:WORD_1 src1_sel:DWORD
	v_add_f16_e32 v76, v76, v78
	v_fma_f16 v78, v69, s23, v77
	v_add_f16_e32 v78, v78, v80
	v_mul_f16_sdwa v80, v69, s23 dst_sel:DWORD dst_unused:UNUSED_PAD src0_sel:WORD_1 src1_sel:DWORD
	v_fma_f16 v77, v69, s23, -v77
	v_add_f16_e32 v90, v95, v90
	;; [unrolled: 10-line block ×5, first 2 shown]
	v_fma_f16 v98, v32, s14, v92
	v_add_f16_e32 v88, v88, v91
	v_fma_f16 v91, v32, s16, v92
	v_mul_f16_sdwa v92, v32, s17 dst_sel:DWORD dst_unused:UNUSED_PAD src0_sel:WORD_1 src1_sel:DWORD
	v_add_f16_e32 v91, v91, v93
	v_fma_f16 v93, v69, s18, v92
	v_add_f16_e32 v93, v93, v96
	v_mul_f16_sdwa v96, v69, s18 dst_sel:DWORD dst_unused:UNUSED_PAD src0_sel:WORD_1 src1_sel:DWORD
	v_fma_f16 v99, v32, s21, v96
	v_fma_f16 v32, v32, s17, v96
	v_add_f16_e32 v31, v32, v31
	v_pk_add_f16 v32, v30, v29
	v_pk_add_f16 v29, v29, v30 neg_lo:[0,1] neg_hi:[0,1]
	v_fma_f16 v69, v69, s18, -v92
	v_pk_mul_f16 v30, v29, s28 op_sel_hi:[1,0]
	v_add_f16_e32 v69, v69, v70
	v_pk_fma_f16 v70, v32, s29, v30 op_sel:[0,0,1] op_sel_hi:[1,0,0]
	v_pk_fma_f16 v30, v32, s29, v30 op_sel:[0,0,1] op_sel_hi:[1,0,0] neg_lo:[0,0,1] neg_hi:[0,0,1]
	v_bfi_b32 v92, s33, v70, v30
	v_pk_add_f16 v30, v30, v33
	v_pk_add_f16 v33, v70, v34
	v_mul_f16_sdwa v34, v29, s31 dst_sel:DWORD dst_unused:UNUSED_PAD src0_sel:WORD_1 src1_sel:DWORD
	v_fma_f16 v70, v32, s20, v34
	v_add_f16_e32 v70, v70, v72
	v_mul_f16_sdwa v72, v32, s20 dst_sel:DWORD dst_unused:UNUSED_PAD src0_sel:WORD_1 src1_sel:DWORD
	v_fma_f16 v34, v32, s20, -v34
	v_pk_add_f16 v82, v92, v82
	v_fma_f16 v92, v29, s19, v72
	v_add_f16_e32 v34, v34, v71
	v_fma_f16 v71, v29, s31, v72
	v_mul_f16_sdwa v72, v29, s25 dst_sel:DWORD dst_unused:UNUSED_PAD src0_sel:WORD_1 src1_sel:DWORD
	v_add_f16_e32 v71, v71, v73
	v_fma_f16 v73, v32, s26, v72
	v_add_f16_e32 v73, v73, v75
	v_mul_f16_sdwa v75, v32, s26 dst_sel:DWORD dst_unused:UNUSED_PAD src0_sel:WORD_1 src1_sel:DWORD
	v_fma_f16 v72, v32, s26, -v72
	v_add_f16_e32 v86, v92, v86
	v_fma_f16 v92, v29, s27, v75
	v_add_f16_e32 v72, v72, v74
	v_fma_f16 v74, v29, s25, v75
	v_mul_f16_sdwa v75, v29, s16 dst_sel:DWORD dst_unused:UNUSED_PAD src0_sel:WORD_1 src1_sel:DWORD
	v_add_f16_e32 v74, v74, v76
	v_fma_f16 v76, v32, s15, v75
	v_add_f16_e32 v76, v76, v78
	v_mul_f16_sdwa v78, v32, s15 dst_sel:DWORD dst_unused:UNUSED_PAD src0_sel:WORD_1 src1_sel:DWORD
	v_fma_f16 v75, v32, s15, -v75
	v_add_f16_e32 v90, v92, v90
	;; [unrolled: 10-line block ×5, first 2 shown]
	v_fma_f16 v96, v29, s21, v89
	v_add_f16_e32 v85, v85, v88
	v_fma_f16 v88, v29, s17, v89
	v_mul_f16_sdwa v89, v29, s6 dst_sel:DWORD dst_unused:UNUSED_PAD src0_sel:WORD_1 src1_sel:DWORD
	v_add_f16_e32 v107, v107, v109
	v_add_f16_e32 v88, v88, v91
	v_fma_f16 v91, v32, s3, v89
	v_add_f16_e32 v105, v105, v107
	v_add_f16_e32 v91, v91, v93
	v_mul_f16_sdwa v93, v32, s3 dst_sel:DWORD dst_unused:UNUSED_PAD src0_sel:WORD_1 src1_sel:DWORD
	v_add_f16_e32 v103, v103, v105
	v_add_f16_e32 v100, v100, v102
	;; [unrolled: 1-line block ×3, first 2 shown]
	v_fma_f16 v97, v29, s2, v93
	v_fma_f16 v29, v29, s6, v93
	v_add_f16_e32 v101, v101, v103
	v_add_f16_e32 v98, v98, v100
	;; [unrolled: 1-line block ×3, first 2 shown]
	s_barrier
	ds_write2_b32 v61, v68, v82 offset1:1
	v_pack_b32_f16 v31, v73, v90
	v_pack_b32_f16 v68, v70, v86
	v_add_f16_e32 v99, v99, v101
	v_add_f16_e32 v96, v96, v98
	v_fma_f16 v32, v32, s3, -v89
	ds_write2_b32 v61, v68, v31 offset0:2 offset1:3
	v_pack_b32_f16 v31, v79, v94
	v_pack_b32_f16 v68, v76, v92
	v_add_f16_e32 v97, v97, v99
	v_add_f16_e32 v32, v32, v69
	ds_write2_b32 v61, v68, v31 offset0:4 offset1:5
	v_pack_b32_f16 v31, v87, v96
	v_pack_b32_f16 v68, v83, v95
	ds_write2_b32 v61, v68, v31 offset0:6 offset1:7
	v_pack_b32_f16 v29, v32, v29
	v_pack_b32_f16 v31, v91, v97
	;; [unrolled: 3-line block ×5, first 2 shown]
	ds_write2_b32 v61, v31, v29 offset0:14 offset1:15
	v_bfi_b32 v29, s33, v30, v33
	ds_write_b32 v61, v29 offset:64
	s_waitcnt lgkmcnt(0)
	s_barrier
	ds_read2_b32 v[30:31], v41 offset1:102
	ds_read2_b32 v[32:33], v40 offset0:76 offset1:178
	ds_read2_b32 v[68:69], v37 offset0:152 offset1:254
	ds_read2_b32 v[70:71], v38 offset0:100 offset1:202
	ds_read2_b32 v[72:73], v39 offset0:48 offset1:150
	s_waitcnt lgkmcnt(4)
	v_lshrrev_b32_e32 v29, 16, v31
	v_mul_f16_sdwa v90, v0, v29 dst_sel:DWORD dst_unused:UNUSED_PAD src0_sel:WORD_1 src1_sel:DWORD
	s_waitcnt lgkmcnt(3)
	v_lshrrev_b32_e32 v34, 16, v32
	v_fma_f16 v90, v0, v31, v90
	v_mul_f16_sdwa v31, v0, v31 dst_sel:DWORD dst_unused:UNUSED_PAD src0_sel:WORD_1 src1_sel:DWORD
	v_fma_f16 v31, v0, v29, -v31
	v_mul_f16_sdwa v0, v1, v34 dst_sel:DWORD dst_unused:UNUSED_PAD src0_sel:WORD_1 src1_sel:DWORD
	v_lshrrev_b32_e32 v40, 16, v33
	v_fma_f16 v91, v1, v32, v0
	v_mul_f16_sdwa v0, v1, v32 dst_sel:DWORD dst_unused:UNUSED_PAD src0_sel:WORD_1 src1_sel:DWORD
	v_fma_f16 v32, v1, v34, -v0
	v_mul_f16_sdwa v0, v2, v40 dst_sel:DWORD dst_unused:UNUSED_PAD src0_sel:WORD_1 src1_sel:DWORD
	s_waitcnt lgkmcnt(2)
	v_lshrrev_b32_e32 v76, 16, v68
	v_fma_f16 v34, v2, v33, v0
	v_mul_f16_sdwa v0, v2, v33 dst_sel:DWORD dst_unused:UNUSED_PAD src0_sel:WORD_1 src1_sel:DWORD
	v_fma_f16 v33, v2, v40, -v0
	v_mul_f16_sdwa v0, v3, v76 dst_sel:DWORD dst_unused:UNUSED_PAD src0_sel:WORD_1 src1_sel:DWORD
	v_lshrrev_b32_e32 v77, 16, v69
	v_fma_f16 v40, v3, v68, v0
	v_mul_f16_sdwa v0, v3, v68 dst_sel:DWORD dst_unused:UNUSED_PAD src0_sel:WORD_1 src1_sel:DWORD
	v_fma_f16 v68, v3, v76, -v0
	v_mul_f16_sdwa v0, v8, v77 dst_sel:DWORD dst_unused:UNUSED_PAD src0_sel:WORD_1 src1_sel:DWORD
	s_waitcnt lgkmcnt(1)
	v_lshrrev_b32_e32 v78, 16, v70
	v_fma_f16 v76, v8, v69, v0
	v_mul_f16_sdwa v0, v8, v69 dst_sel:DWORD dst_unused:UNUSED_PAD src0_sel:WORD_1 src1_sel:DWORD
	v_fma_f16 v69, v8, v77, -v0
	v_mul_f16_sdwa v0, v9, v78 dst_sel:DWORD dst_unused:UNUSED_PAD src0_sel:WORD_1 src1_sel:DWORD
	v_lshrrev_b32_e32 v79, 16, v71
	v_fma_f16 v77, v9, v70, v0
	v_mul_f16_sdwa v0, v9, v70 dst_sel:DWORD dst_unused:UNUSED_PAD src0_sel:WORD_1 src1_sel:DWORD
	ds_read2_b32 v[60:61], v60 offset0:124 offset1:226
	v_fma_f16 v70, v9, v78, -v0
	v_mul_f16_sdwa v0, v10, v79 dst_sel:DWORD dst_unused:UNUSED_PAD src0_sel:WORD_1 src1_sel:DWORD
	s_waitcnt lgkmcnt(1)
	v_lshrrev_b32_e32 v80, 16, v72
	v_fma_f16 v29, v10, v71, v0
	v_mul_f16_sdwa v0, v10, v71 dst_sel:DWORD dst_unused:UNUSED_PAD src0_sel:WORD_1 src1_sel:DWORD
	v_fma_f16 v10, v10, v79, -v0
	v_mul_f16_sdwa v0, v11, v80 dst_sel:DWORD dst_unused:UNUSED_PAD src0_sel:WORD_1 src1_sel:DWORD
	v_lshrrev_b32_e32 v81, 16, v73
	v_fma_f16 v2, v11, v72, v0
	v_mul_f16_sdwa v0, v11, v72 dst_sel:DWORD dst_unused:UNUSED_PAD src0_sel:WORD_1 src1_sel:DWORD
	ds_read2_b32 v[74:75], v66 offset0:72 offset1:174
	;; [unrolled: 12-line block ×3, first 2 shown]
	v_fma_f16 v12, v13, v82, -v0
	v_mul_f16_sdwa v0, v14, v83 dst_sel:DWORD dst_unused:UNUSED_PAD src0_sel:WORD_1 src1_sel:DWORD
	s_waitcnt lgkmcnt(1)
	v_lshrrev_b32_e32 v85, 16, v74
	v_fma_f16 v13, v14, v61, v0
	v_mul_f16_sdwa v0, v14, v61 dst_sel:DWORD dst_unused:UNUSED_PAD src0_sel:WORD_1 src1_sel:DWORD
	v_fma_f16 v14, v14, v83, -v0
	v_mul_f16_sdwa v0, v15, v85 dst_sel:DWORD dst_unused:UNUSED_PAD src0_sel:WORD_1 src1_sel:DWORD
	v_lshrrev_b32_e32 v86, 16, v75
	v_fma_f16 v60, v15, v74, v0
	v_mul_f16_sdwa v0, v15, v74 dst_sel:DWORD dst_unused:UNUSED_PAD src0_sel:WORD_1 src1_sel:DWORD
	ds_read_b32 v84, v41 offset:6528
	v_fma_f16 v15, v15, v85, -v0
	v_mul_f16_sdwa v0, v4, v86 dst_sel:DWORD dst_unused:UNUSED_PAD src0_sel:WORD_1 src1_sel:DWORD
	s_waitcnt lgkmcnt(1)
	v_lshrrev_b32_e32 v87, 16, v66
	v_fma_f16 v61, v4, v75, v0
	v_mul_f16_sdwa v0, v4, v75 dst_sel:DWORD dst_unused:UNUSED_PAD src0_sel:WORD_1 src1_sel:DWORD
	v_fma_f16 v4, v4, v86, -v0
	v_mul_f16_sdwa v0, v5, v87 dst_sel:DWORD dst_unused:UNUSED_PAD src0_sel:WORD_1 src1_sel:DWORD
	v_lshrrev_b32_e32 v88, 16, v67
	v_fma_f16 v71, v5, v66, v0
	v_mul_f16_sdwa v0, v5, v66 dst_sel:DWORD dst_unused:UNUSED_PAD src0_sel:WORD_1 src1_sel:DWORD
	v_fma_f16 v5, v5, v87, -v0
	v_mul_f16_sdwa v0, v6, v88 dst_sel:DWORD dst_unused:UNUSED_PAD src0_sel:WORD_1 src1_sel:DWORD
	s_waitcnt lgkmcnt(0)
	v_lshrrev_b32_e32 v89, 16, v84
	v_fma_f16 v66, v6, v67, v0
	v_mul_f16_sdwa v0, v6, v67 dst_sel:DWORD dst_unused:UNUSED_PAD src0_sel:WORD_1 src1_sel:DWORD
	v_fma_f16 v6, v6, v88, -v0
	v_mul_f16_sdwa v0, v7, v89 dst_sel:DWORD dst_unused:UNUSED_PAD src0_sel:WORD_1 src1_sel:DWORD
	v_fma_f16 v67, v7, v84, v0
	v_mul_f16_sdwa v0, v7, v84 dst_sel:DWORD dst_unused:UNUSED_PAD src0_sel:WORD_1 src1_sel:DWORD
	v_add_f16_sdwa v1, v30, v31 dst_sel:DWORD dst_unused:UNUSED_PAD src0_sel:WORD_1 src1_sel:DWORD
	v_fma_f16 v7, v7, v89, -v0
	v_add_f16_e32 v0, v30, v90
	v_add_f16_e32 v1, v1, v32
	;; [unrolled: 1-line block ×31, first 2 shown]
	v_sub_f16_e32 v7, v31, v7
	v_add_f16_e32 v0, v0, v67
	v_add_f16_e32 v72, v90, v67
	v_sub_f16_e32 v67, v90, v67
	v_mul_f16_e32 v31, 0xb5c8, v7
	v_mul_f16_e32 v75, 0x3b76, v73
	;; [unrolled: 1-line block ×16, first 2 shown]
	v_fma_f16 v74, v72, s20, v31
	v_fma_f16 v78, v67, s31, v75
	v_fma_f16 v31, v72, s20, -v31
	v_fma_f16 v75, v67, s19, v75
	v_fma_f16 v80, v72, s15, v79
	v_fma_f16 v82, v67, s16, v81
	v_fma_f16 v79, v72, s15, -v79
	v_fma_f16 v81, v67, s14, v81
	v_fma_f16 v84, v72, s12, v83
	v_fma_f16 v86, v67, s13, v85
	v_fma_f16 v83, v72, s12, -v83
	v_fma_f16 v85, v67, s7, v85
	v_fma_f16 v88, v72, s3, v87
	v_fma_f16 v90, v67, s6, v89
	v_fma_f16 v87, v72, s3, -v87
	v_fma_f16 v89, v67, s2, v89
	v_fma_f16 v93, v72, s18, v92
	v_fma_f16 v95, v67, s21, v94
	v_fma_f16 v92, v72, s18, -v92
	v_fma_f16 v94, v67, s17, v94
	v_fma_f16 v97, v72, s23, v96
	v_fma_f16 v99, v67, s24, v98
	v_fma_f16 v96, v72, s23, -v96
	v_fma_f16 v98, v67, s22, v98
	v_fma_f16 v101, v72, s26, v100
	v_fma_f16 v103, v67, s27, v102
	v_fma_f16 v100, v72, s26, -v100
	v_fma_f16 v102, v67, s25, v102
	v_fma_f16 v104, v72, s29, v7
	v_fma_f16 v105, v67, s30, v73
	v_fma_f16 v7, v72, s29, -v7
	v_fma_f16 v67, v67, s28, v73
	v_add_f16_e32 v72, v32, v6
	v_sub_f16_e32 v6, v32, v6
	v_add_f16_e32 v74, v30, v74
	v_add_f16_sdwa v78, v30, v78 dst_sel:DWORD dst_unused:UNUSED_PAD src0_sel:WORD_1 src1_sel:DWORD
	v_add_f16_e32 v31, v30, v31
	v_add_f16_sdwa v75, v30, v75 dst_sel:DWORD dst_unused:UNUSED_PAD src0_sel:WORD_1 src1_sel:DWORD
	v_add_f16_e32 v80, v30, v80
	v_add_f16_sdwa v82, v30, v82 dst_sel:DWORD dst_unused:UNUSED_PAD src0_sel:WORD_1 src1_sel:DWORD
	v_add_f16_e32 v79, v30, v79
	v_add_f16_sdwa v81, v30, v81 dst_sel:DWORD dst_unused:UNUSED_PAD src0_sel:WORD_1 src1_sel:DWORD
	v_add_f16_e32 v84, v30, v84
	v_add_f16_sdwa v86, v30, v86 dst_sel:DWORD dst_unused:UNUSED_PAD src0_sel:WORD_1 src1_sel:DWORD
	v_add_f16_e32 v83, v30, v83
	v_add_f16_sdwa v85, v30, v85 dst_sel:DWORD dst_unused:UNUSED_PAD src0_sel:WORD_1 src1_sel:DWORD
	v_add_f16_e32 v88, v30, v88
	v_add_f16_sdwa v90, v30, v90 dst_sel:DWORD dst_unused:UNUSED_PAD src0_sel:WORD_1 src1_sel:DWORD
	v_add_f16_e32 v87, v30, v87
	v_add_f16_sdwa v89, v30, v89 dst_sel:DWORD dst_unused:UNUSED_PAD src0_sel:WORD_1 src1_sel:DWORD
	v_add_f16_e32 v93, v30, v93
	v_add_f16_sdwa v95, v30, v95 dst_sel:DWORD dst_unused:UNUSED_PAD src0_sel:WORD_1 src1_sel:DWORD
	v_add_f16_e32 v92, v30, v92
	v_add_f16_sdwa v94, v30, v94 dst_sel:DWORD dst_unused:UNUSED_PAD src0_sel:WORD_1 src1_sel:DWORD
	v_add_f16_e32 v97, v30, v97
	v_add_f16_sdwa v99, v30, v99 dst_sel:DWORD dst_unused:UNUSED_PAD src0_sel:WORD_1 src1_sel:DWORD
	v_add_f16_e32 v96, v30, v96
	v_add_f16_sdwa v98, v30, v98 dst_sel:DWORD dst_unused:UNUSED_PAD src0_sel:WORD_1 src1_sel:DWORD
	v_add_f16_e32 v101, v30, v101
	v_add_f16_sdwa v103, v30, v103 dst_sel:DWORD dst_unused:UNUSED_PAD src0_sel:WORD_1 src1_sel:DWORD
	v_add_f16_e32 v100, v30, v100
	v_add_f16_sdwa v102, v30, v102 dst_sel:DWORD dst_unused:UNUSED_PAD src0_sel:WORD_1 src1_sel:DWORD
	v_add_f16_e32 v104, v30, v104
	v_add_f16_sdwa v105, v30, v105 dst_sel:DWORD dst_unused:UNUSED_PAD src0_sel:WORD_1 src1_sel:DWORD
	v_add_f16_e32 v7, v30, v7
	v_add_f16_sdwa v30, v30, v67 dst_sel:DWORD dst_unused:UNUSED_PAD src0_sel:WORD_1 src1_sel:DWORD
	v_add_f16_e32 v67, v91, v66
	v_mul_f16_e32 v32, 0xb964, v6
	v_fma_f16 v73, v67, s15, v32
	v_sub_f16_e32 v66, v91, v66
	v_add_f16_e32 v73, v73, v74
	v_mul_f16_e32 v74, 0x39e9, v72
	v_fma_f16 v32, v67, s15, -v32
	v_fma_f16 v91, v66, s16, v74
	v_add_f16_e32 v31, v32, v31
	v_fma_f16 v32, v66, s14, v74
	v_mul_f16_e32 v74, 0xbbf7, v6
	v_add_f16_e32 v32, v32, v75
	v_fma_f16 v75, v67, s3, v74
	v_add_f16_e32 v75, v75, v80
	v_mul_f16_e32 v80, 0x2de8, v72
	v_fma_f16 v74, v67, s3, -v74
	v_add_f16_e32 v78, v91, v78
	v_fma_f16 v91, v66, s6, v80
	v_add_f16_e32 v74, v74, v79
	v_fma_f16 v79, v66, s2, v80
	v_mul_f16_e32 v80, 0xba62, v6
	v_add_f16_e32 v79, v79, v81
	v_fma_f16 v81, v67, s23, v80
	v_add_f16_e32 v81, v81, v84
	v_mul_f16_e32 v84, 0xb8d2, v72
	v_fma_f16 v80, v67, s23, -v80
	v_add_f16_e32 v82, v91, v82
	;; [unrolled: 10-line block ×3, first 2 shown]
	v_fma_f16 v91, v66, s30, v88
	v_add_f16_e32 v84, v84, v87
	v_fma_f16 v87, v66, s28, v88
	v_mul_f16_e32 v88, 0x3836, v6
	v_add_f16_e32 v90, v91, v90
	v_add_f16_e32 v87, v87, v89
	v_fma_f16 v89, v67, s26, v88
	v_mul_f16_e32 v91, 0xbacd, v72
	v_fma_f16 v88, v67, s26, -v88
	v_add_f16_e32 v89, v89, v93
	v_fma_f16 v93, v66, s25, v91
	v_add_f16_e32 v88, v88, v92
	v_fma_f16 v91, v66, s27, v91
	v_mul_f16_e32 v92, 0x3bb2, v6
	v_add_f16_e32 v93, v93, v95
	v_add_f16_e32 v91, v91, v94
	v_fma_f16 v94, v67, s18, v92
	v_mul_f16_e32 v95, 0xb461, v72
	v_fma_f16 v92, v67, s18, -v92
	v_add_f16_e32 v94, v94, v97
	v_fma_f16 v97, v66, s17, v95
	v_add_f16_e32 v92, v92, v96
	v_fma_f16 v95, v66, s21, v95
	v_mul_f16_e32 v96, 0x3b29, v6
	v_add_f16_e32 v97, v97, v99
	v_add_f16_e32 v95, v95, v98
	v_fma_f16 v98, v67, s12, v96
	v_mul_f16_e32 v99, 0x3722, v72
	v_fma_f16 v96, v67, s12, -v96
	v_mul_f16_e32 v6, 0x35c8, v6
	v_add_f16_e32 v98, v98, v101
	v_fma_f16 v101, v66, s7, v99
	v_add_f16_e32 v96, v96, v100
	v_fma_f16 v99, v66, s13, v99
	v_fma_f16 v100, v67, s20, v6
	v_mul_f16_e32 v72, 0x3b76, v72
	v_fma_f16 v6, v67, s20, -v6
	v_add_f16_e32 v99, v99, v102
	v_fma_f16 v102, v66, s19, v72
	v_add_f16_e32 v6, v6, v7
	v_fma_f16 v7, v66, s31, v72
	v_add_f16_e32 v66, v33, v5
	v_sub_f16_e32 v5, v33, v5
	v_add_f16_e32 v7, v7, v30
	v_add_f16_e32 v30, v34, v71
	v_mul_f16_e32 v33, 0xbb29, v5
	v_sub_f16_e32 v34, v34, v71
	v_fma_f16 v67, v30, s12, v33
	v_mul_f16_e32 v71, 0x3722, v66
	v_fma_f16 v33, v30, s12, -v33
	v_add_f16_e32 v31, v33, v31
	v_fma_f16 v33, v34, s7, v71
	v_add_f16_e32 v32, v33, v32
	v_mul_f16_e32 v33, 0xba62, v5
	v_fma_f16 v72, v34, s13, v71
	v_fma_f16 v71, v30, s23, v33
	v_fma_f16 v33, v30, s23, -v33
	v_add_f16_e32 v67, v67, v73
	v_mul_f16_e32 v73, 0xb8d2, v66
	v_add_f16_e32 v33, v33, v74
	v_mul_f16_e32 v74, 0x31e1, v5
	v_add_f16_e32 v72, v72, v78
	v_add_f16_e32 v71, v71, v75
	v_fma_f16 v75, v34, s24, v73
	v_fma_f16 v73, v34, s22, v73
	v_fma_f16 v78, v30, s29, v74
	v_fma_f16 v74, v30, s29, -v74
	v_add_f16_e32 v73, v73, v79
	v_mul_f16_e32 v79, 0xbbdd, v66
	v_add_f16_e32 v74, v74, v80
	v_mul_f16_e32 v80, 0x3bb2, v5
	v_add_f16_e32 v75, v75, v82
	v_add_f16_e32 v78, v78, v81
	v_fma_f16 v81, v34, s28, v79
	;; [unrolled: 10-line block ×5, first 2 shown]
	v_fma_f16 v91, v34, s19, v91
	v_fma_f16 v94, v30, s3, v92
	v_fma_f16 v92, v30, s3, -v92
	v_mul_f16_e32 v5, 0xb836, v5
	v_add_f16_e32 v91, v91, v95
	v_mul_f16_e32 v95, 0x2de8, v66
	v_add_f16_e32 v92, v92, v96
	v_fma_f16 v96, v30, s26, v5
	v_mul_f16_e32 v66, 0xbacd, v66
	v_fma_f16 v5, v30, s26, -v5
	v_add_f16_e32 v5, v5, v6
	v_fma_f16 v6, v34, s25, v66
	v_add_f16_e32 v30, v68, v4
	v_sub_f16_e32 v4, v68, v4
	v_add_f16_e32 v93, v93, v97
	v_add_f16_e32 v94, v94, v98
	v_fma_f16 v97, v34, s6, v95
	v_fma_f16 v95, v34, s2, v95
	;; [unrolled: 1-line block ×3, first 2 shown]
	v_add_f16_e32 v6, v6, v7
	v_add_f16_e32 v7, v40, v61
	v_sub_f16_e32 v34, v40, v61
	v_mul_f16_e32 v40, 0xbbf7, v4
	v_fma_f16 v61, v7, s3, v40
	v_mul_f16_e32 v66, 0x2de8, v30
	v_fma_f16 v40, v7, s3, -v40
	v_add_f16_e32 v31, v40, v31
	v_fma_f16 v40, v34, s2, v66
	v_add_f16_e32 v32, v40, v32
	v_mul_f16_e32 v40, 0xb1e1, v4
	v_add_f16_e32 v61, v61, v67
	v_fma_f16 v67, v34, s6, v66
	v_fma_f16 v66, v7, s29, v40
	v_mul_f16_e32 v68, 0xbbdd, v30
	v_fma_f16 v40, v7, s29, -v40
	v_add_f16_e32 v66, v66, v71
	v_fma_f16 v71, v34, s30, v68
	v_add_f16_e32 v33, v40, v33
	v_fma_f16 v40, v34, s28, v68
	v_mul_f16_e32 v68, 0x3bb2, v4
	v_add_f16_e32 v67, v67, v72
	v_fma_f16 v72, v7, s18, v68
	v_fma_f16 v68, v7, s18, -v68
	v_add_f16_e32 v40, v40, v73
	v_mul_f16_e32 v73, 0xb461, v30
	v_add_f16_e32 v68, v68, v74
	v_mul_f16_e32 v74, 0x35c8, v4
	v_add_f16_e32 v71, v71, v75
	v_add_f16_e32 v72, v72, v78
	v_fma_f16 v75, v34, s17, v73
	v_fma_f16 v73, v34, s21, v73
	v_fma_f16 v78, v7, s20, v74
	v_fma_f16 v74, v7, s20, -v74
	v_add_f16_e32 v73, v73, v79
	v_mul_f16_e32 v79, 0x3b76, v30
	v_add_f16_e32 v74, v74, v80
	v_mul_f16_e32 v80, 0xbb29, v4
	v_add_f16_e32 v75, v75, v81
	v_add_f16_e32 v78, v78, v82
	v_fma_f16 v81, v34, s19, v79
	v_fma_f16 v79, v34, s31, v79
	;; [unrolled: 10-line block ×4, first 2 shown]
	v_fma_f16 v90, v7, s23, v88
	v_fma_f16 v88, v7, s23, -v88
	v_mul_f16_e32 v4, 0x3964, v4
	v_add_f16_e32 v87, v87, v91
	v_mul_f16_e32 v91, 0xb8d2, v30
	v_add_f16_e32 v88, v88, v92
	v_fma_f16 v92, v7, s15, v4
	v_mul_f16_e32 v30, 0x39e9, v30
	v_fma_f16 v4, v7, s15, -v4
	v_add_f16_e32 v4, v4, v5
	v_fma_f16 v5, v34, s16, v30
	v_add_f16_e32 v7, v69, v15
	v_sub_f16_e32 v15, v69, v15
	v_add_f16_e32 v89, v89, v93
	v_add_f16_e32 v90, v90, v94
	v_fma_f16 v93, v34, s22, v91
	v_fma_f16 v91, v34, s24, v91
	;; [unrolled: 1-line block ×3, first 2 shown]
	v_add_f16_e32 v5, v5, v6
	v_add_f16_e32 v6, v76, v60
	v_mul_f16_e32 v34, 0xbbb2, v15
	v_sub_f16_e32 v30, v76, v60
	v_fma_f16 v60, v6, s18, v34
	v_add_f16_e32 v60, v60, v61
	v_mul_f16_e32 v61, 0xb461, v7
	v_fma_f16 v34, v6, s18, -v34
	v_add_f16_e32 v31, v34, v31
	v_fma_f16 v34, v30, s17, v61
	v_add_f16_e32 v32, v34, v32
	v_mul_f16_e32 v34, 0x3836, v15
	v_fma_f16 v69, v30, s21, v61
	v_fma_f16 v61, v6, s26, v34
	v_add_f16_e32 v61, v61, v66
	v_mul_f16_e32 v66, 0xbacd, v7
	v_fma_f16 v34, v6, s26, -v34
	v_add_f16_e32 v33, v34, v33
	v_fma_f16 v34, v30, s27, v66
	v_add_f16_e32 v67, v69, v67
	v_fma_f16 v69, v30, s25, v66
	v_add_f16_e32 v34, v34, v40
	v_mul_f16_e32 v40, 0x3964, v15
	v_add_f16_e32 v69, v69, v71
	v_fma_f16 v66, v6, s15, v40
	v_mul_f16_e32 v71, 0x39e9, v7
	v_fma_f16 v40, v6, s15, -v40
	v_add_f16_e32 v66, v66, v72
	v_fma_f16 v72, v30, s14, v71
	v_add_f16_e32 v40, v40, v68
	v_fma_f16 v68, v30, s16, v71
	v_mul_f16_e32 v71, 0xbb29, v15
	v_add_f16_e32 v72, v72, v75
	v_add_f16_e32 v68, v68, v73
	v_fma_f16 v73, v6, s12, v71
	v_mul_f16_e32 v75, 0x3722, v7
	v_fma_f16 v71, v6, s12, -v71
	v_fma_f16 v76, v30, s13, v75
	v_add_f16_e32 v71, v71, v74
	v_fma_f16 v74, v30, s7, v75
	v_mul_f16_e32 v75, 0xb1e1, v15
	v_add_f16_e32 v73, v73, v78
	v_fma_f16 v78, v6, s29, v75
	v_fma_f16 v75, v6, s29, -v75
	v_add_f16_e32 v74, v74, v79
	v_mul_f16_e32 v79, 0xbbdd, v7
	v_add_f16_e32 v75, v75, v80
	v_mul_f16_e32 v80, 0x3bf7, v15
	v_add_f16_e32 v76, v76, v81
	v_add_f16_e32 v78, v78, v82
	v_fma_f16 v81, v30, s30, v79
	v_fma_f16 v79, v30, s28, v79
	v_fma_f16 v82, v6, s3, v80
	v_fma_f16 v80, v6, s3, -v80
	v_add_f16_e32 v79, v79, v83
	v_mul_f16_e32 v83, 0x2de8, v7
	v_add_f16_e32 v80, v80, v84
	v_mul_f16_e32 v84, 0xb5c8, v15
	v_add_f16_e32 v81, v81, v85
	v_add_f16_e32 v82, v82, v86
	v_fma_f16 v85, v30, s2, v83
	v_fma_f16 v83, v30, s6, v83
	;; [unrolled: 1-line block ×3, first 2 shown]
	v_fma_f16 v84, v6, s20, -v84
	v_mul_f16_e32 v15, 0xba62, v15
	v_add_f16_e32 v83, v83, v87
	v_mul_f16_e32 v87, 0x3b76, v7
	v_add_f16_e32 v84, v84, v88
	v_fma_f16 v88, v6, s23, v15
	v_mul_f16_e32 v7, 0xb8d2, v7
	v_fma_f16 v6, v6, s23, -v15
	v_add_f16_e32 v86, v86, v90
	v_fma_f16 v90, v30, s24, v7
	v_add_f16_e32 v4, v6, v4
	v_fma_f16 v6, v30, s22, v7
	v_add_f16_e32 v7, v70, v14
	v_sub_f16_e32 v14, v70, v14
	v_add_f16_e32 v5, v6, v5
	v_add_f16_e32 v6, v77, v13
	v_mul_f16_e32 v15, 0xba62, v14
	v_add_f16_e32 v85, v85, v89
	v_fma_f16 v89, v30, s31, v87
	v_fma_f16 v87, v30, s19, v87
	;; [unrolled: 1-line block ×3, first 2 shown]
	v_sub_f16_e32 v13, v77, v13
	v_add_f16_e32 v30, v30, v60
	v_mul_f16_e32 v60, 0xb8d2, v7
	v_fma_f16 v15, v6, s23, -v15
	v_add_f16_e32 v15, v15, v31
	v_fma_f16 v31, v13, s22, v60
	v_add_f16_e32 v31, v31, v32
	v_mul_f16_e32 v32, 0x3bb2, v14
	v_fma_f16 v70, v13, s24, v60
	v_fma_f16 v60, v6, s18, v32
	v_add_f16_e32 v60, v60, v61
	v_mul_f16_e32 v61, 0xb461, v7
	v_fma_f16 v32, v6, s18, -v32
	v_add_f16_e32 v32, v32, v33
	v_fma_f16 v33, v13, s21, v61
	v_add_f16_e32 v33, v33, v34
	v_mul_f16_e32 v34, 0xb5c8, v14
	v_add_f16_e32 v67, v70, v67
	v_fma_f16 v70, v13, s17, v61
	v_fma_f16 v61, v6, s20, v34
	v_add_f16_e32 v61, v61, v66
	v_mul_f16_e32 v66, 0x3b76, v7
	v_fma_f16 v34, v6, s20, -v34
	v_add_f16_e32 v69, v70, v69
	v_fma_f16 v70, v13, s31, v66
	v_add_f16_e32 v34, v34, v40
	v_fma_f16 v40, v13, s19, v66
	v_mul_f16_e32 v66, 0xb836, v14
	v_add_f16_e32 v70, v70, v72
	v_add_f16_e32 v40, v40, v68
	v_fma_f16 v68, v6, s26, v66
	v_mul_f16_e32 v72, 0xbacd, v7
	v_fma_f16 v66, v6, s26, -v66
	v_add_f16_e32 v68, v68, v73
	v_fma_f16 v73, v13, s27, v72
	v_add_f16_e32 v66, v66, v71
	v_fma_f16 v71, v13, s25, v72
	v_mul_f16_e32 v72, 0x3bf7, v14
	v_add_f16_e32 v73, v73, v76
	v_add_f16_e32 v71, v71, v74
	v_fma_f16 v74, v6, s3, v72
	v_mul_f16_e32 v76, 0x2de8, v7
	v_fma_f16 v72, v6, s3, -v72
	v_fma_f16 v77, v13, s2, v76
	v_add_f16_e32 v72, v72, v75
	v_fma_f16 v75, v13, s6, v76
	v_mul_f16_e32 v76, 0xb964, v14
	v_add_f16_e32 v74, v74, v78
	v_fma_f16 v78, v6, s15, v76
	v_fma_f16 v76, v6, s15, -v76
	v_add_f16_e32 v75, v75, v79
	v_mul_f16_e32 v79, 0x39e9, v7
	v_add_f16_e32 v76, v76, v80
	v_mul_f16_e32 v80, 0xb1e1, v14
	v_add_f16_e32 v77, v77, v81
	v_add_f16_e32 v78, v78, v82
	v_fma_f16 v81, v13, s16, v79
	v_fma_f16 v79, v13, s14, v79
	;; [unrolled: 1-line block ×3, first 2 shown]
	v_fma_f16 v80, v6, s29, -v80
	v_mul_f16_e32 v14, 0x3b29, v14
	v_add_f16_e32 v79, v79, v83
	v_mul_f16_e32 v83, 0xbbdd, v7
	v_add_f16_e32 v80, v80, v84
	v_fma_f16 v84, v6, s12, v14
	v_mul_f16_e32 v7, 0x3722, v7
	v_fma_f16 v6, v6, s12, -v14
	v_add_f16_e32 v82, v82, v86
	v_fma_f16 v86, v13, s7, v7
	v_add_f16_e32 v4, v6, v4
	v_fma_f16 v6, v13, s13, v7
	v_add_f16_e32 v7, v10, v12
	v_sub_f16_e32 v10, v10, v12
	v_add_f16_e32 v5, v6, v5
	v_add_f16_e32 v6, v29, v11
	v_sub_f16_e32 v11, v29, v11
	v_mul_f16_e32 v12, 0xb836, v10
	v_mul_f16_e32 v14, 0xbacd, v7
	v_add_f16_e32 v81, v81, v85
	v_fma_f16 v85, v13, s30, v83
	v_fma_f16 v83, v13, s28, v83
	;; [unrolled: 1-line block ×4, first 2 shown]
	v_fma_f16 v12, v6, s26, -v12
	v_fma_f16 v14, v11, s25, v14
	v_add_f16_e32 v12, v12, v15
	v_add_f16_e32 v15, v14, v31
	v_mul_f16_e32 v14, 0x3b29, v10
	v_add_f16_e32 v13, v13, v30
	v_fma_f16 v30, v6, s12, v14
	v_add_f16_e32 v31, v30, v60
	v_mul_f16_e32 v30, 0x3722, v7
	v_fma_f16 v14, v6, s12, -v14
	v_add_f16_e32 v32, v14, v32
	v_fma_f16 v14, v11, s13, v30
	v_add_f16_e32 v33, v14, v33
	v_mul_f16_e32 v14, 0xbbf7, v10
	v_fma_f16 v60, v11, s7, v30
	v_fma_f16 v30, v6, s3, v14
	v_add_f16_e32 v61, v30, v61
	v_mul_f16_e32 v30, 0x2de8, v7
	v_fma_f16 v14, v6, s3, -v14
	v_add_f16_e32 v34, v14, v34
	v_fma_f16 v14, v11, s2, v30
	v_add_f16_e32 v40, v14, v40
	v_mul_f16_e32 v14, 0x3a62, v10
	v_add_f16_e32 v29, v29, v67
	v_fma_f16 v67, v11, s6, v30
	v_fma_f16 v30, v6, s23, v14
	v_add_f16_e32 v68, v30, v68
	v_mul_f16_e32 v30, 0xb8d2, v7
	v_fma_f16 v14, v6, s23, -v14
	v_add_f16_e32 v66, v14, v66
	v_fma_f16 v14, v11, s24, v30
	v_add_f16_e32 v67, v67, v70
	v_add_f16_e32 v70, v14, v71
	v_mul_f16_e32 v14, 0xb5c8, v10
	v_add_f16_e32 v60, v60, v69
	v_fma_f16 v69, v11, s22, v30
	v_fma_f16 v30, v6, s20, v14
	v_add_f16_e32 v71, v30, v74
	v_mul_f16_e32 v30, 0x3b76, v7
	v_fma_f16 v14, v6, s20, -v14
	v_add_f16_e32 v72, v14, v72
	v_fma_f16 v14, v11, s19, v30
	v_add_f16_e32 v74, v14, v75
	v_mul_f16_e32 v14, 0xb1e1, v10
	v_add_f16_e32 v69, v69, v73
	v_fma_f16 v73, v11, s31, v30
	v_fma_f16 v30, v6, s29, v14
	v_add_f16_e32 v75, v30, v78
	v_mul_f16_e32 v30, 0xbbdd, v7
	v_fma_f16 v14, v6, s29, -v14
	v_add_f16_e32 v76, v14, v76
	v_fma_f16 v14, v11, s28, v30
	v_add_f16_e32 v100, v100, v104
	v_add_f16_e32 v95, v95, v99
	;; [unrolled: 1-line block ×3, first 2 shown]
	v_mul_f16_e32 v14, 0x3964, v10
	v_add_f16_e32 v96, v96, v100
	v_add_f16_e32 v91, v91, v95
	;; [unrolled: 1-line block ×3, first 2 shown]
	v_fma_f16 v77, v11, s30, v30
	v_fma_f16 v30, v6, s15, v14
	v_add_f16_e32 v92, v92, v96
	v_add_f16_e32 v87, v87, v91
	;; [unrolled: 1-line block ×3, first 2 shown]
	v_mul_f16_e32 v30, 0x39e9, v7
	v_fma_f16 v14, v6, s15, -v14
	v_add_f16_e32 v102, v102, v105
	v_add_f16_e32 v88, v88, v92
	;; [unrolled: 1-line block ×4, first 2 shown]
	v_fma_f16 v14, v11, s16, v30
	v_mul_f16_e32 v10, 0xbbb2, v10
	v_add_f16_e32 v98, v98, v102
	v_add_f16_e32 v84, v84, v88
	;; [unrolled: 1-line block ×3, first 2 shown]
	v_fma_f16 v14, v6, s18, v10
	v_mul_f16_e32 v7, 0xb461, v7
	v_fma_f16 v6, v6, s18, -v10
	v_add_f16_e32 v94, v94, v98
	v_add_f16_e32 v83, v14, v84
	v_fma_f16 v14, v11, s21, v7
	v_add_f16_e32 v4, v6, v4
	v_fma_f16 v6, v11, s17, v7
	v_add_f16_e32 v7, v3, v9
	v_sub_f16_e32 v3, v3, v9
	v_add_f16_e32 v90, v90, v94
	v_add_f16_e32 v5, v6, v5
	;; [unrolled: 1-line block ×3, first 2 shown]
	v_sub_f16_e32 v2, v2, v8
	v_mul_f16_e32 v8, 0xb1e1, v3
	v_add_f16_e32 v86, v86, v90
	v_fma_f16 v9, v6, s29, v8
	v_mul_f16_e32 v10, 0xbbdd, v7
	v_fma_f16 v8, v6, s29, -v8
	v_add_f16_e32 v84, v14, v86
	v_add_f16_e32 v14, v8, v12
	v_fma_f16 v8, v2, s28, v10
	v_add_f16_e32 v77, v77, v81
	v_fma_f16 v81, v11, s14, v30
	v_add_f16_e32 v30, v8, v15
	v_mul_f16_e32 v8, 0x35c8, v3
	v_mul_f16_e32 v12, 0x3b76, v7
	v_add_f16_e32 v9, v9, v13
	v_fma_f16 v11, v2, s30, v10
	v_fma_f16 v10, v6, s20, v8
	;; [unrolled: 1-line block ×3, first 2 shown]
	v_fma_f16 v8, v6, s20, -v8
	v_add_f16_e32 v60, v13, v60
	v_add_f16_e32 v13, v8, v32
	v_fma_f16 v8, v2, s31, v12
	v_add_f16_e32 v11, v11, v29
	v_add_f16_e32 v29, v8, v33
	v_mul_f16_e32 v8, 0xb836, v3
	v_fma_f16 v12, v6, s26, v8
	v_add_f16_e32 v61, v12, v61
	v_mul_f16_e32 v12, 0xbacd, v7
	v_fma_f16 v8, v6, s26, -v8
	v_add_f16_e32 v10, v10, v31
	v_add_f16_e32 v31, v8, v34
	v_fma_f16 v8, v2, s25, v12
	v_add_f16_e32 v34, v8, v40
	v_mul_f16_e32 v8, 0x3964, v3
	v_fma_f16 v15, v2, s27, v12
	v_fma_f16 v12, v6, s15, v8
	v_add_f16_e32 v40, v12, v68
	v_mul_f16_e32 v12, 0x39e9, v7
	v_add_f16_e32 v67, v15, v67
	v_fma_f16 v15, v2, s14, v12
	v_fma_f16 v8, v6, s15, -v8
	v_add_f16_e32 v68, v15, v69
	v_add_f16_e32 v15, v8, v66
	v_fma_f16 v8, v2, s16, v12
	v_add_f16_e32 v33, v8, v70
	v_mul_f16_e32 v8, 0xba62, v3
	v_fma_f16 v12, v6, s23, v8
	v_mul_f16_e32 v32, 0xb8d2, v7
	v_add_f16_e32 v101, v101, v103
	v_add_f16_e32 v66, v12, v71
	v_fma_f16 v12, v2, s24, v32
	v_fma_f16 v8, v6, s23, -v8
	v_add_f16_e32 v97, v97, v101
	v_add_f16_e32 v69, v12, v73
	v_add_f16_e32 v12, v8, v72
	v_fma_f16 v8, v2, s22, v32
	v_add_f16_e32 v93, v93, v97
	v_add_f16_e32 v32, v8, v74
	v_mul_f16_e32 v8, 0x3b29, v3
	v_add_f16_e32 v89, v89, v93
	v_fma_f16 v70, v6, s12, v8
	v_add_f16_e32 v85, v85, v89
	v_add_f16_e32 v70, v70, v75
	v_mul_f16_e32 v71, 0x3722, v7
	v_fma_f16 v8, v6, s12, -v8
	v_mul_f16_e32 v73, 0xbbb2, v3
	v_mul_f16_e32 v75, 0xb461, v7
	v_pack_b32_f16 v0, v0, v1
	v_pack_b32_f16 v1, v9, v11
	v_add_f16_e32 v81, v81, v85
	v_fma_f16 v72, v2, s7, v71
	v_add_f16_e32 v8, v8, v76
	v_fma_f16 v71, v2, s13, v71
	v_fma_f16 v74, v6, s18, v73
	;; [unrolled: 1-line block ×3, first 2 shown]
	v_mul_f16_e32 v3, 0x3bf7, v3
	v_mul_f16_e32 v7, 0x2de8, v7
	s_barrier
	ds_write2_b32 v62, v0, v1 offset1:17
	v_pack_b32_f16 v0, v10, v60
	v_pack_b32_f16 v1, v61, v67
	v_add_f16_e32 v72, v72, v77
	v_add_f16_e32 v71, v71, v78
	;; [unrolled: 1-line block ×4, first 2 shown]
	v_fma_f16 v75, v2, s17, v75
	v_fma_f16 v77, v6, s3, v3
	;; [unrolled: 1-line block ×3, first 2 shown]
	v_fma_f16 v3, v6, s3, -v3
	v_fma_f16 v2, v2, s6, v7
	ds_write2_b32 v62, v0, v1 offset0:34 offset1:51
	v_pack_b32_f16 v0, v40, v68
	v_pack_b32_f16 v1, v66, v69
	v_fma_f16 v73, v6, s18, -v73
	v_add_f16_e32 v77, v77, v83
	v_add_f16_e32 v78, v78, v84
	;; [unrolled: 1-line block ×4, first 2 shown]
	ds_write2_b32 v62, v0, v1 offset0:68 offset1:85
	v_pack_b32_f16 v0, v70, v72
	v_pack_b32_f16 v1, v74, v76
	v_add_f16_e32 v73, v73, v80
	v_add_f16_e32 v75, v75, v82
	ds_write2_b32 v62, v0, v1 offset0:102 offset1:119
	v_pack_b32_f16 v0, v77, v78
	v_pack_b32_f16 v1, v3, v2
	ds_write2_b32 v62, v0, v1 offset0:136 offset1:153
	v_pack_b32_f16 v0, v73, v75
	v_pack_b32_f16 v1, v8, v71
	;; [unrolled: 3-line block ×4, first 2 shown]
	ds_write2_b32 v62, v0, v1 offset0:238 offset1:255
	v_pack_b32_f16 v0, v14, v30
	ds_write_b32 v62, v0 offset:1088
	s_waitcnt lgkmcnt(0)
	s_barrier
	ds_read2_b32 v[0:1], v41 offset1:102
	ds_read2_b32 v[10:11], v37 offset0:33 offset1:135
	ds_read2_b32 v[8:9], v38 offset0:66 offset1:168
	;; [unrolled: 1-line block ×3, first 2 shown]
	v_add_u32_e32 v4, 0x1000, v41
	v_add_u32_e32 v6, 0x1600, v41
	ds_read2_b32 v[4:5], v4 offset0:132 offset1:234
	ds_read2_b32 v[6:7], v6 offset0:37 offset1:139
	s_and_saveexec_b64 s[2:3], s[0:1]
	s_cbranch_execz .LBB0_7
; %bb.6:
	ds_read_b32 v12, v41 offset:816
	ds_read_b32 v15, v41 offset:1972
	;; [unrolled: 1-line block ×6, first 2 shown]
	s_waitcnt lgkmcnt(5)
	v_lshrrev_b32_e32 v32, 16, v12
	s_waitcnt lgkmcnt(4)
	v_lshrrev_b32_e32 v33, 16, v15
	;; [unrolled: 2-line block ×6, first 2 shown]
.LBB0_7:
	s_or_b64 exec, exec, s[2:3]
	s_waitcnt lgkmcnt(4)
	v_lshrrev_b32_e32 v38, 16, v10
	v_mul_f16_sdwa v71, v20, v38 dst_sel:DWORD dst_unused:UNUSED_PAD src0_sel:WORD_1 src1_sel:DWORD
	s_waitcnt lgkmcnt(3)
	v_lshrrev_b32_e32 v39, 16, v8
	v_fma_f16 v71, v20, v10, v71
	v_mul_f16_sdwa v10, v20, v10 dst_sel:DWORD dst_unused:UNUSED_PAD src0_sel:WORD_1 src1_sel:DWORD
	v_fma_f16 v10, v20, v38, -v10
	v_mul_f16_sdwa v20, v21, v39 dst_sel:DWORD dst_unused:UNUSED_PAD src0_sel:WORD_1 src1_sel:DWORD
	s_waitcnt lgkmcnt(2)
	v_lshrrev_b32_e32 v40, 16, v2
	v_fma_f16 v20, v21, v8, v20
	v_mul_f16_sdwa v8, v21, v8 dst_sel:DWORD dst_unused:UNUSED_PAD src0_sel:WORD_1 src1_sel:DWORD
	v_fma_f16 v8, v21, v39, -v8
	;; [unrolled: 6-line block ×3, first 2 shown]
	v_mul_f16_sdwa v22, v23, v60 dst_sel:DWORD dst_unused:UNUSED_PAD src0_sel:WORD_1 src1_sel:DWORD
	v_fma_f16 v22, v23, v4, v22
	v_mul_f16_sdwa v4, v23, v4 dst_sel:DWORD dst_unused:UNUSED_PAD src0_sel:WORD_1 src1_sel:DWORD
	s_waitcnt lgkmcnt(0)
	v_lshrrev_b32_e32 v61, 16, v6
	v_fma_f16 v4, v23, v60, -v4
	v_add_f16_e32 v40, v20, v22
	v_lshrrev_b32_e32 v37, 16, v0
	v_lshrrev_b32_e32 v66, 16, v11
	v_mul_f16_sdwa v23, v64, v61 dst_sel:DWORD dst_unused:UNUSED_PAD src0_sel:WORD_1 src1_sel:DWORD
	v_add_f16_e32 v39, v0, v20
	v_fma_f16 v0, v40, -0.5, v0
	v_sub_f16_e32 v40, v8, v4
	s_mov_b32 s6, 0xbaee
	s_movk_i32 s7, 0x3aee
	v_fma_f16 v23, v64, v6, v23
	v_mul_f16_sdwa v6, v64, v6 dst_sel:DWORD dst_unused:UNUSED_PAD src0_sel:WORD_1 src1_sel:DWORD
	v_mul_f16_sdwa v38, v24, v66 dst_sel:DWORD dst_unused:UNUSED_PAD src0_sel:WORD_1 src1_sel:DWORD
	v_fma_f16 v60, v40, s6, v0
	v_fma_f16 v0, v40, s7, v0
	v_add_f16_e32 v40, v37, v8
	v_lshrrev_b32_e32 v67, 16, v9
	v_fma_f16 v6, v64, v61, -v6
	v_fma_f16 v38, v24, v11, v38
	v_mul_f16_sdwa v11, v24, v11 dst_sel:DWORD dst_unused:UNUSED_PAD src0_sel:WORD_1 src1_sel:DWORD
	v_add_f16_e32 v39, v39, v22
	v_add_f16_e32 v40, v40, v4
	;; [unrolled: 1-line block ×3, first 2 shown]
	v_sub_f16_e32 v8, v20, v22
	v_add_f16_e32 v22, v21, v23
	v_fma_f16 v11, v24, v66, -v11
	v_mul_f16_sdwa v24, v25, v67 dst_sel:DWORD dst_unused:UNUSED_PAD src0_sel:WORD_1 src1_sel:DWORD
	v_fma_f16 v4, v4, -0.5, v37
	v_fma_f16 v22, v22, -0.5, v71
	v_sub_f16_e32 v37, v2, v6
	v_lshrrev_b32_e32 v68, 16, v3
	v_fma_f16 v24, v25, v9, v24
	v_mul_f16_sdwa v9, v25, v9 dst_sel:DWORD dst_unused:UNUSED_PAD src0_sel:WORD_1 src1_sel:DWORD
	v_fma_f16 v61, v37, s6, v22
	v_fma_f16 v22, v37, s7, v22
	v_add_f16_e32 v37, v10, v2
	v_add_f16_e32 v2, v2, v6
	v_fma_f16 v9, v25, v67, -v9
	v_mul_f16_sdwa v25, v26, v68 dst_sel:DWORD dst_unused:UNUSED_PAD src0_sel:WORD_1 src1_sel:DWORD
	v_add_f16_e32 v37, v37, v6
	v_fma_f16 v2, v2, -0.5, v10
	v_sub_f16_e32 v6, v21, v23
	v_lshrrev_b32_e32 v69, 16, v5
	v_fma_f16 v25, v26, v3, v25
	v_mul_f16_sdwa v3, v26, v3 dst_sel:DWORD dst_unused:UNUSED_PAD src0_sel:WORD_1 src1_sel:DWORD
	v_fma_f16 v10, v6, s7, v2
	v_fma_f16 v3, v26, v68, -v3
	v_mul_f16_sdwa v26, v27, v69 dst_sel:DWORD dst_unused:UNUSED_PAD src0_sel:WORD_1 src1_sel:DWORD
	v_fma_f16 v20, v8, s7, v4
	v_fma_f16 v4, v8, s6, v4
	v_add_f16_e32 v8, v71, v21
	v_fma_f16 v2, v6, s6, v2
	v_mul_f16_e32 v21, 0xbaee, v10
	v_mul_f16_e32 v10, 0.5, v10
	v_fma_f16 v26, v27, v5, v26
	v_mul_f16_sdwa v5, v27, v5 dst_sel:DWORD dst_unused:UNUSED_PAD src0_sel:WORD_1 src1_sel:DWORD
	v_mul_f16_e32 v64, 0xbaee, v2
	v_fma_f16 v10, v61, s7, v10
	v_mul_f16_e32 v2, -0.5, v2
	v_fma_f16 v5, v27, v69, -v5
	v_fma_f16 v21, v61, 0.5, v21
	v_add_f16_e32 v61, v20, v10
	v_fma_f16 v2, v22, s7, v2
	v_sub_f16_e32 v10, v20, v10
	v_add_f16_e32 v20, v24, v26
	v_lshrrev_b32_e32 v62, 16, v1
	v_lshrrev_b32_e32 v70, 16, v7
	v_add_f16_e32 v8, v8, v23
	v_fma_f16 v64, v22, -0.5, v64
	v_add_f16_e32 v22, v4, v2
	v_sub_f16_e32 v2, v4, v2
	v_add_f16_e32 v4, v1, v24
	v_fma_f16 v1, v20, -0.5, v1
	v_sub_f16_e32 v20, v9, v5
	v_mul_f16_sdwa v27, v65, v70 dst_sel:DWORD dst_unused:UNUSED_PAD src0_sel:WORD_1 src1_sel:DWORD
	v_add_f16_e32 v6, v39, v8
	v_sub_f16_e32 v8, v39, v8
	v_fma_f16 v39, v20, s6, v1
	v_fma_f16 v1, v20, s7, v1
	v_add_f16_e32 v20, v62, v9
	v_fma_f16 v27, v65, v7, v27
	v_mul_f16_sdwa v7, v65, v7 dst_sel:DWORD dst_unused:UNUSED_PAD src0_sel:WORD_1 src1_sel:DWORD
	v_add_f16_e32 v20, v20, v5
	v_add_f16_e32 v5, v9, v5
	v_fma_f16 v7, v65, v70, -v7
	v_add_f16_e32 v4, v4, v26
	v_fma_f16 v5, v5, -0.5, v62
	v_sub_f16_e32 v9, v24, v26
	v_add_f16_e32 v26, v25, v27
	v_fma_f16 v24, v9, s7, v5
	v_fma_f16 v5, v9, s6, v5
	v_add_f16_e32 v9, v38, v25
	v_fma_f16 v26, v26, -0.5, v38
	v_sub_f16_e32 v38, v3, v7
	v_add_f16_e32 v66, v40, v37
	v_sub_f16_e32 v37, v40, v37
	v_fma_f16 v40, v38, s6, v26
	v_fma_f16 v26, v38, s7, v26
	v_add_f16_e32 v38, v11, v3
	v_add_f16_e32 v3, v3, v7
	;; [unrolled: 1-line block ×3, first 2 shown]
	v_fma_f16 v3, v3, -0.5, v11
	v_sub_f16_e32 v7, v25, v27
	v_fma_f16 v11, v7, s7, v3
	v_fma_f16 v3, v7, s6, v3
	v_add_f16_e32 v23, v60, v21
	v_sub_f16_e32 v21, v60, v21
	v_mul_f16_e32 v60, 0xbaee, v3
	v_mul_f16_e32 v3, -0.5, v3
	v_fma_f16 v3, v26, s7, v3
	v_add_f16_e32 v65, v0, v64
	v_fma_f16 v60, v26, -0.5, v60
	v_add_f16_e32 v26, v5, v3
	v_sub_f16_e32 v3, v5, v3
	v_pack_b32_f16 v5, v6, v66
	v_pack_b32_f16 v6, v23, v61
	v_sub_f16_e32 v0, v0, v64
	v_add_f16_e32 v9, v9, v27
	v_mul_f16_e32 v25, 0xbaee, v11
	v_mul_f16_e32 v11, 0.5, v11
	ds_write_b32 v41, v6 offset:1156
	v_pack_b32_f16 v6, v65, v22
	v_add_f16_e32 v7, v4, v9
	v_fma_f16 v25, v40, 0.5, v25
	v_add_f16_e32 v64, v20, v38
	v_fma_f16 v11, v40, s7, v11
	ds_write_b32 v41, v6 offset:2312
	v_pack_b32_f16 v6, v8, v37
	v_pack_b32_f16 v0, v0, v2
	v_add_f16_e32 v27, v39, v25
	v_add_f16_e32 v40, v24, v11
	ds_write_b32 v41, v6 offset:3468
	v_pack_b32_f16 v6, v21, v10
	ds_write_b32 v41, v0 offset:5780
	v_pack_b32_f16 v0, v7, v64
	v_add_f16_e32 v62, v1, v60
	ds_write_b32 v41, v6 offset:4624
	ds_write2_b32 v41, v5, v0 offset1:102
	v_pack_b32_f16 v0, v27, v40
	v_sub_f16_e32 v4, v4, v9
	v_sub_f16_e32 v20, v20, v38
	ds_write_b32 v41, v0 offset:1564
	v_pack_b32_f16 v0, v62, v26
	v_sub_f16_e32 v9, v39, v25
	v_sub_f16_e32 v11, v24, v11
	ds_write_b32 v41, v0 offset:2720
	v_pack_b32_f16 v0, v4, v20
	v_sub_f16_e32 v1, v1, v60
	ds_write_b32 v41, v0 offset:3876
	v_pack_b32_f16 v0, v9, v11
	ds_write_b32 v41, v0 offset:5032
	v_pack_b32_f16 v0, v1, v3
	ds_write_b32 v41, v0 offset:6188
	s_and_saveexec_b64 s[2:3], s[0:1]
	s_cbranch_execz .LBB0_9
; %bb.8:
	v_mul_f16_sdwa v8, v18, v29 dst_sel:DWORD dst_unused:UNUSED_PAD src0_sel:WORD_1 src1_sel:DWORD
	v_mul_f16_sdwa v0, v17, v31 dst_sel:DWORD dst_unused:UNUSED_PAD src0_sel:WORD_1 src1_sel:DWORD
	;; [unrolled: 1-line block ×4, first 2 shown]
	v_fma_f16 v8, v18, v13, v8
	v_mul_f16_sdwa v9, v63, v36 dst_sel:DWORD dst_unused:UNUSED_PAD src0_sel:WORD_1 src1_sel:DWORD
	v_mul_f16_sdwa v11, v18, v13 dst_sel:DWORD dst_unused:UNUSED_PAD src0_sel:WORD_1 src1_sel:DWORD
	;; [unrolled: 1-line block ×3, first 2 shown]
	v_fma_f16 v0, v17, v34, -v0
	v_fma_f16 v1, v19, v30, -v1
	v_mul_f16_sdwa v3, v17, v34 dst_sel:DWORD dst_unused:UNUSED_PAD src0_sel:WORD_1 src1_sel:DWORD
	v_mul_f16_sdwa v4, v19, v30 dst_sel:DWORD dst_unused:UNUSED_PAD src0_sel:WORD_1 src1_sel:DWORD
	v_fma_f16 v7, v16, v15, v7
	v_fma_f16 v9, v63, v35, v9
	v_fma_f16 v11, v18, v29, -v11
	v_fma_f16 v13, v63, v36, -v13
	v_mul_f16_sdwa v15, v16, v15 dst_sel:DWORD dst_unused:UNUSED_PAD src0_sel:WORD_1 src1_sel:DWORD
	v_add_f16_e32 v2, v0, v1
	v_fma_f16 v3, v17, v31, v3
	v_fma_f16 v4, v19, v14, v4
	v_add_f16_e32 v10, v8, v9
	v_fma_f16 v15, v16, v33, -v15
	v_add_f16_e32 v16, v11, v13
	v_fma_f16 v2, v2, -0.5, v32
	v_sub_f16_e32 v5, v3, v4
	v_fma_f16 v10, v10, -0.5, v7
	v_sub_f16_e32 v14, v11, v13
	v_fma_f16 v16, v16, -0.5, v15
	v_sub_f16_e32 v18, v8, v9
	v_fma_f16 v6, v5, s6, v2
	v_fma_f16 v17, v14, s7, v10
	;; [unrolled: 1-line block ×5, first 2 shown]
	v_add_f16_e32 v11, v15, v11
	v_add_f16_e32 v15, v3, v4
	v_fma_f16 v19, v18, s6, v16
	v_mul_f16_e32 v14, 0.5, v10
	v_add_f16_e32 v18, v32, v0
	v_fma_f16 v15, v15, -0.5, v12
	v_sub_f16_e32 v0, v0, v1
	v_mul_f16_e32 v10, 0xbaee, v10
	v_mul_f16_e32 v20, -0.5, v19
	v_fma_f16 v14, v5, s7, v14
	v_add_f16_e32 v18, v18, v1
	v_fma_f16 v1, v0, s7, v15
	v_mul_f16_e32 v19, 0xbaee, v19
	v_fma_f16 v0, v0, s6, v15
	v_fma_f16 v5, v5, 0.5, v10
	v_add_f16_e32 v3, v12, v3
	v_fma_f16 v20, v17, s7, v20
	v_sub_f16_e32 v16, v2, v14
	v_fma_f16 v17, v17, -0.5, v19
	v_sub_f16_e32 v10, v0, v5
	v_add_f16_e32 v3, v3, v4
	v_add_f16_e32 v4, v7, v8
	v_add_f16_e32 v2, v2, v14
	v_add_f16_e32 v0, v0, v5
	v_sub_f16_e32 v21, v6, v20
	v_add_f16_e32 v11, v11, v13
	v_sub_f16_e32 v19, v1, v17
	v_add_f16_e32 v4, v4, v9
	v_add_f16_e32 v6, v6, v20
	;; [unrolled: 1-line block ×3, first 2 shown]
	v_pack_b32_f16 v0, v0, v2
	v_sub_f16_e32 v13, v18, v11
	v_sub_f16_e32 v7, v3, v4
	ds_write_b32 v41, v0 offset:1972
	v_pack_b32_f16 v0, v1, v6
	ds_write_b32 v41, v0 offset:3128
	v_pack_b32_f16 v0, v7, v13
	v_add_f16_e32 v8, v18, v11
	v_add_f16_e32 v3, v3, v4
	ds_write_b32 v41, v0 offset:4284
	v_pack_b32_f16 v0, v10, v16
	v_pack_b32_f16 v3, v3, v8
	ds_write_b32 v41, v0 offset:5440
	v_pack_b32_f16 v0, v19, v21
	ds_write_b32 v41, v3 offset:816
	ds_write_b32 v41, v0 offset:6596
.LBB0_9:
	s_or_b64 exec, exec, s[2:3]
	s_waitcnt lgkmcnt(0)
	s_barrier
	ds_read2_b32 v[0:1], v41 offset1:102
	s_mov_b32 s2, 0x8b5e3104
	s_mov_b32 s3, 0x3f42e5b8
	v_mad_u64_u32 v[4:5], s[0:1], s10, v28, 0
	s_waitcnt lgkmcnt(0)
	v_lshrrev_b32_e32 v7, 16, v0
	v_mul_f16_sdwa v2, v59, v7 dst_sel:DWORD dst_unused:UNUSED_PAD src0_sel:WORD_1 src1_sel:DWORD
	v_fma_f16 v2, v59, v0, v2
	v_cvt_f32_f16_e32 v2, v2
	s_movk_i32 s6, 0x1ff
	v_mad_u64_u32 v[5:6], s[0:1], s11, v28, v[5:6]
	v_cvt_f64_f32_e32 v[2:3], v2
	s_movk_i32 s7, 0xffe
	v_mul_f16_sdwa v0, v59, v0 dst_sel:DWORD dst_unused:UNUSED_PAD src0_sel:WORD_1 src1_sel:DWORD
	v_fma_f16 v0, v59, v7, -v0
	v_mul_f64 v[2:3], v[2:3], s[2:3]
	v_cvt_f32_f16_e32 v7, v0
	v_mov_b32_e32 v0, 0x7c00
	s_movk_i32 s10, 0x40f
	s_mov_b32 s11, 0x8000
	v_lshrrev_b32_e32 v11, 16, v1
	v_and_or_b32 v2, v3, s6, v2
	v_cmp_ne_u32_e32 vcc, 0, v2
	v_lshrrev_b32_e32 v6, 8, v3
	v_bfe_u32 v8, v3, 20, 11
	v_cndmask_b32_e64 v2, 0, 1, vcc
	v_sub_u32_e32 v9, 0x3f1, v8
	v_and_or_b32 v2, v6, s7, v2
	v_or_b32_e32 v6, 0x1000, v2
	v_med3_i32 v9, v9, 0, 13
	v_lshrrev_b32_e32 v10, v9, v6
	v_lshlrev_b32_e32 v9, v9, v10
	v_cmp_ne_u32_e32 vcc, v9, v6
	v_cndmask_b32_e64 v6, 0, 1, vcc
	v_add_u32_e32 v8, 0xfffffc10, v8
	v_or_b32_e32 v6, v10, v6
	v_lshl_or_b32 v9, v8, 12, v2
	v_cmp_gt_i32_e32 vcc, 1, v8
	v_cndmask_b32_e32 v6, v9, v6, vcc
	v_and_b32_e32 v9, 7, v6
	v_cmp_lt_i32_e32 vcc, 5, v9
	v_cmp_eq_u32_e64 s[0:1], 3, v9
	v_lshrrev_b32_e32 v6, 2, v6
	s_or_b64 vcc, s[0:1], vcc
	v_addc_co_u32_e32 v9, vcc, 0, v6, vcc
	v_cvt_f64_f32_e32 v[6:7], v7
	v_cmp_gt_i32_e32 vcc, 31, v8
	v_cndmask_b32_e32 v9, v0, v9, vcc
	v_cmp_ne_u32_e32 vcc, 0, v2
	v_mul_f64 v[6:7], v[6:7], s[2:3]
	v_cndmask_b32_e64 v2, 0, 1, vcc
	v_lshl_or_b32 v2, v2, 9, v0
	v_cmp_eq_u32_e32 vcc, s10, v8
	v_cndmask_b32_e32 v2, v9, v2, vcc
	v_lshrrev_b32_e32 v3, 16, v3
	v_and_or_b32 v8, v3, s11, v2
	v_and_b32_e32 v8, 0xffff, v8
	v_and_or_b32 v2, v7, s6, v6
	v_cmp_ne_u32_e32 vcc, 0, v2
	v_cndmask_b32_e64 v2, 0, 1, vcc
	v_lshrrev_b32_e32 v3, 8, v7
	v_bfe_u32 v6, v7, 20, 11
	v_and_or_b32 v2, v3, s7, v2
	v_sub_u32_e32 v9, 0x3f1, v6
	v_or_b32_e32 v3, 0x1000, v2
	v_med3_i32 v9, v9, 0, 13
	v_lshrrev_b32_e32 v10, v9, v3
	v_lshlrev_b32_e32 v9, v9, v10
	v_cmp_ne_u32_e32 vcc, v9, v3
	v_cndmask_b32_e64 v3, 0, 1, vcc
	v_add_u32_e32 v6, 0xfffffc10, v6
	v_or_b32_e32 v3, v10, v3
	v_lshl_or_b32 v9, v6, 12, v2
	v_cmp_gt_i32_e32 vcc, 1, v6
	v_cndmask_b32_e32 v3, v9, v3, vcc
	v_and_b32_e32 v9, 7, v3
	v_cmp_lt_i32_e32 vcc, 5, v9
	v_cmp_eq_u32_e64 s[0:1], 3, v9
	v_lshrrev_b32_e32 v3, 2, v3
	s_or_b64 vcc, s[0:1], vcc
	v_addc_co_u32_e32 v3, vcc, 0, v3, vcc
	v_cmp_gt_i32_e32 vcc, 31, v6
	v_cndmask_b32_e32 v9, v0, v3, vcc
	v_cmp_ne_u32_e32 vcc, 0, v2
	v_cndmask_b32_e64 v2, 0, 1, vcc
	v_lshl_or_b32 v10, v2, 9, v0
	v_mad_u64_u32 v[2:3], s[0:1], s8, v57, 0
	v_cmp_eq_u32_e32 vcc, s10, v6
	v_cndmask_b32_e32 v9, v9, v10, vcc
	v_lshrrev_b32_e32 v10, 16, v7
	v_mad_u64_u32 v[6:7], s[0:1], s9, v57, v[3:4]
	v_mul_f16_sdwa v3, v58, v11 dst_sel:DWORD dst_unused:UNUSED_PAD src0_sel:WORD_1 src1_sel:DWORD
	v_fma_f16 v3, v58, v1, v3
	v_cvt_f32_f16_e32 v7, v3
	v_mov_b32_e32 v3, v6
	v_lshlrev_b64 v[4:5], 2, v[4:5]
	v_and_or_b32 v9, v10, s11, v9
	v_cvt_f64_f32_e32 v[6:7], v7
	v_lshl_or_b32 v8, v9, 16, v8
	v_mov_b32_e32 v9, s5
	v_add_co_u32_e32 v4, vcc, s4, v4
	v_mul_f64 v[6:7], v[6:7], s[2:3]
	v_lshlrev_b64 v[2:3], 2, v[2:3]
	v_addc_co_u32_e32 v5, vcc, v9, v5, vcc
	v_add_co_u32_e32 v2, vcc, v4, v2
	v_addc_co_u32_e32 v3, vcc, v5, v3, vcc
	v_and_or_b32 v4, v7, s6, v6
	v_cmp_ne_u32_e32 vcc, 0, v4
	v_cndmask_b32_e64 v4, 0, 1, vcc
	v_lshrrev_b32_e32 v5, 8, v7
	v_and_or_b32 v6, v5, s7, v4
	v_bfe_u32 v5, v7, 20, 11
	global_store_dword v[2:3], v8, off
	v_sub_u32_e32 v8, 0x3f1, v5
	v_or_b32_e32 v4, 0x1000, v6
	v_med3_i32 v8, v8, 0, 13
	v_lshrrev_b32_e32 v9, v8, v4
	v_lshlrev_b32_e32 v8, v8, v9
	v_mul_f16_sdwa v1, v58, v1 dst_sel:DWORD dst_unused:UNUSED_PAD src0_sel:WORD_1 src1_sel:DWORD
	v_cmp_ne_u32_e32 vcc, v8, v4
	v_fma_f16 v1, v58, v11, -v1
	v_cndmask_b32_e64 v4, 0, 1, vcc
	v_add_u32_e32 v8, 0xfffffc10, v5
	v_cvt_f32_f16_e32 v1, v1
	v_or_b32_e32 v4, v9, v4
	v_lshl_or_b32 v5, v8, 12, v6
	v_cmp_gt_i32_e32 vcc, 1, v8
	v_cndmask_b32_e32 v4, v5, v4, vcc
	v_and_b32_e32 v5, 7, v4
	v_cmp_lt_i32_e32 vcc, 5, v5
	v_cmp_eq_u32_e64 s[0:1], 3, v5
	v_lshrrev_b32_e32 v9, 2, v4
	v_cvt_f64_f32_e32 v[4:5], v1
	s_or_b64 vcc, s[0:1], vcc
	v_addc_co_u32_e32 v1, vcc, 0, v9, vcc
	v_mul_f64 v[4:5], v[4:5], s[2:3]
	v_cmp_gt_i32_e32 vcc, 31, v8
	v_cndmask_b32_e32 v1, v0, v1, vcc
	v_cmp_ne_u32_e32 vcc, 0, v6
	v_cndmask_b32_e64 v6, 0, 1, vcc
	v_lshl_or_b32 v6, v6, 9, v0
	v_cmp_eq_u32_e32 vcc, s10, v8
	v_cndmask_b32_e32 v1, v1, v6, vcc
	v_and_or_b32 v4, v5, s6, v4
	v_lshrrev_b32_e32 v6, 16, v7
	v_cmp_ne_u32_e32 vcc, 0, v4
	v_and_or_b32 v1, v6, s11, v1
	v_cndmask_b32_e64 v4, 0, 1, vcc
	v_lshrrev_b32_e32 v6, 8, v5
	v_bfe_u32 v7, v5, 20, 11
	v_and_or_b32 v4, v6, s7, v4
	v_sub_u32_e32 v8, 0x3f1, v7
	v_or_b32_e32 v6, 0x1000, v4
	v_med3_i32 v8, v8, 0, 13
	v_lshrrev_b32_e32 v9, v8, v6
	v_lshlrev_b32_e32 v8, v8, v9
	v_cmp_ne_u32_e32 vcc, v8, v6
	v_cndmask_b32_e64 v6, 0, 1, vcc
	v_add_u32_e32 v8, 0xfffffc10, v7
	v_or_b32_e32 v6, v9, v6
	v_lshl_or_b32 v7, v8, 12, v4
	v_cmp_gt_i32_e32 vcc, 1, v8
	v_cndmask_b32_e32 v6, v7, v6, vcc
	v_and_b32_e32 v7, 7, v6
	v_cmp_lt_i32_e32 vcc, 5, v7
	v_cmp_eq_u32_e64 s[0:1], 3, v7
	v_lshrrev_b32_e32 v6, 2, v6
	s_or_b64 vcc, s[0:1], vcc
	v_addc_co_u32_e32 v6, vcc, 0, v6, vcc
	v_cmp_gt_i32_e32 vcc, 31, v8
	v_cndmask_b32_e32 v9, v0, v6, vcc
	v_add_u32_e32 v6, 0x200, v41
	ds_read2_b32 v[6:7], v6 offset0:76 offset1:178
	v_cmp_ne_u32_e32 vcc, 0, v4
	v_cndmask_b32_e64 v4, 0, 1, vcc
	v_lshl_or_b32 v4, v4, 9, v0
	v_cmp_eq_u32_e32 vcc, s10, v8
	s_waitcnt lgkmcnt(0)
	v_lshrrev_b32_e32 v8, 16, v6
	v_cndmask_b32_e32 v4, v9, v4, vcc
	v_mul_f16_sdwa v9, v56, v8 dst_sel:DWORD dst_unused:UNUSED_PAD src0_sel:WORD_1 src1_sel:DWORD
	v_fma_f16 v9, v56, v6, v9
	v_cvt_f32_f16_e32 v9, v9
	v_lshrrev_b32_e32 v5, 16, v5
	v_and_or_b32 v4, v5, s11, v4
	v_and_b32_e32 v1, 0xffff, v1
	v_lshl_or_b32 v10, v4, 16, v1
	v_cvt_f64_f32_e32 v[4:5], v9
	s_mul_i32 s0, s9, 0x198
	s_mul_hi_u32 s4, s8, 0x198
	s_add_i32 s4, s4, s0
	v_mul_f64 v[4:5], v[4:5], s[2:3]
	s_mul_i32 s5, s8, 0x198
	v_mov_b32_e32 v9, s4
	v_add_co_u32_e32 v1, vcc, s5, v2
	v_addc_co_u32_e32 v2, vcc, v3, v9, vcc
	global_store_dword v[1:2], v10, off
	v_and_or_b32 v3, v5, s6, v4
	v_cmp_ne_u32_e32 vcc, 0, v3
	v_cndmask_b32_e64 v3, 0, 1, vcc
	v_lshrrev_b32_e32 v4, 8, v5
	v_and_or_b32 v9, v4, s7, v3
	v_bfe_u32 v4, v5, 20, 11
	v_sub_u32_e32 v10, 0x3f1, v4
	v_or_b32_e32 v3, 0x1000, v9
	v_med3_i32 v10, v10, 0, 13
	v_lshrrev_b32_e32 v11, v10, v3
	v_lshlrev_b32_e32 v10, v10, v11
	v_mul_f16_sdwa v6, v56, v6 dst_sel:DWORD dst_unused:UNUSED_PAD src0_sel:WORD_1 src1_sel:DWORD
	v_cmp_ne_u32_e32 vcc, v10, v3
	v_fma_f16 v6, v56, v8, -v6
	v_cndmask_b32_e64 v3, 0, 1, vcc
	v_add_u32_e32 v10, 0xfffffc10, v4
	v_cvt_f32_f16_e32 v6, v6
	v_or_b32_e32 v3, v11, v3
	v_lshl_or_b32 v4, v10, 12, v9
	v_cmp_gt_i32_e32 vcc, 1, v10
	v_cndmask_b32_e32 v3, v4, v3, vcc
	v_and_b32_e32 v4, 7, v3
	v_cmp_lt_i32_e32 vcc, 5, v4
	v_cmp_eq_u32_e64 s[0:1], 3, v4
	v_lshrrev_b32_e32 v8, 2, v3
	v_cvt_f64_f32_e32 v[3:4], v6
	s_or_b64 vcc, s[0:1], vcc
	v_addc_co_u32_e32 v6, vcc, 0, v8, vcc
	v_mul_f64 v[3:4], v[3:4], s[2:3]
	v_cmp_gt_i32_e32 vcc, 31, v10
	v_cndmask_b32_e32 v6, v0, v6, vcc
	v_cmp_ne_u32_e32 vcc, 0, v9
	v_cndmask_b32_e64 v8, 0, 1, vcc
	v_lshl_or_b32 v8, v8, 9, v0
	v_cmp_eq_u32_e32 vcc, s10, v10
	v_cndmask_b32_e32 v6, v6, v8, vcc
	v_and_or_b32 v3, v4, s6, v3
	v_lshrrev_b32_e32 v5, 16, v5
	v_cmp_ne_u32_e32 vcc, 0, v3
	v_and_or_b32 v8, v5, s11, v6
	v_cndmask_b32_e64 v3, 0, 1, vcc
	v_lshrrev_b32_e32 v5, 8, v4
	v_bfe_u32 v6, v4, 20, 11
	v_and_or_b32 v3, v5, s7, v3
	v_sub_u32_e32 v9, 0x3f1, v6
	v_or_b32_e32 v5, 0x1000, v3
	v_med3_i32 v9, v9, 0, 13
	v_lshrrev_b32_e32 v10, v9, v5
	v_lshlrev_b32_e32 v9, v9, v10
	v_cmp_ne_u32_e32 vcc, v9, v5
	v_cndmask_b32_e64 v5, 0, 1, vcc
	v_add_u32_e32 v6, 0xfffffc10, v6
	v_or_b32_e32 v5, v10, v5
	v_lshl_or_b32 v9, v6, 12, v3
	v_cmp_gt_i32_e32 vcc, 1, v6
	v_cndmask_b32_e32 v5, v9, v5, vcc
	v_and_b32_e32 v9, 7, v5
	v_cmp_lt_i32_e32 vcc, 5, v9
	v_cmp_eq_u32_e64 s[0:1], 3, v9
	v_lshrrev_b32_e32 v9, 16, v7
	v_lshrrev_b32_e32 v5, 2, v5
	s_or_b64 vcc, s[0:1], vcc
	v_mul_f16_sdwa v10, v55, v9 dst_sel:DWORD dst_unused:UNUSED_PAD src0_sel:WORD_1 src1_sel:DWORD
	v_addc_co_u32_e32 v5, vcc, 0, v5, vcc
	v_fma_f16 v10, v55, v7, v10
	v_cmp_gt_i32_e32 vcc, 31, v6
	v_cvt_f32_f16_e32 v10, v10
	v_cndmask_b32_e32 v5, v0, v5, vcc
	v_cmp_ne_u32_e32 vcc, 0, v3
	v_cndmask_b32_e64 v3, 0, 1, vcc
	v_lshl_or_b32 v3, v3, 9, v0
	v_cmp_eq_u32_e32 vcc, s10, v6
	v_cndmask_b32_e32 v3, v5, v3, vcc
	v_cvt_f64_f32_e32 v[5:6], v10
	v_lshrrev_b32_e32 v4, 16, v4
	v_and_or_b32 v10, v4, s11, v3
	v_add_co_u32_e32 v1, vcc, s5, v1
	v_mul_f64 v[3:4], v[5:6], s[2:3]
	v_mov_b32_e32 v6, s4
	v_and_b32_e32 v8, 0xffff, v8
	v_addc_co_u32_e32 v2, vcc, v2, v6, vcc
	v_lshl_or_b32 v5, v10, 16, v8
	global_store_dword v[1:2], v5, off
	v_mul_f16_sdwa v7, v55, v7 dst_sel:DWORD dst_unused:UNUSED_PAD src0_sel:WORD_1 src1_sel:DWORD
	v_and_or_b32 v3, v4, s6, v3
	v_cmp_ne_u32_e32 vcc, 0, v3
	v_cndmask_b32_e64 v3, 0, 1, vcc
	v_lshrrev_b32_e32 v5, 8, v4
	v_bfe_u32 v6, v4, 20, 11
	v_and_or_b32 v3, v5, s7, v3
	v_sub_u32_e32 v8, 0x3f1, v6
	v_or_b32_e32 v5, 0x1000, v3
	v_med3_i32 v8, v8, 0, 13
	v_lshrrev_b32_e32 v10, v8, v5
	v_lshlrev_b32_e32 v8, v8, v10
	v_cmp_ne_u32_e32 vcc, v8, v5
	v_fma_f16 v7, v55, v9, -v7
	v_cndmask_b32_e64 v5, 0, 1, vcc
	v_add_u32_e32 v8, 0xfffffc10, v6
	v_cvt_f32_f16_e32 v7, v7
	v_or_b32_e32 v5, v10, v5
	v_lshl_or_b32 v6, v8, 12, v3
	v_cmp_gt_i32_e32 vcc, 1, v8
	v_cndmask_b32_e32 v5, v6, v5, vcc
	v_and_b32_e32 v6, 7, v5
	v_cmp_lt_i32_e32 vcc, 5, v6
	v_cmp_eq_u32_e64 s[0:1], 3, v6
	v_lshrrev_b32_e32 v9, 2, v5
	v_cvt_f64_f32_e32 v[5:6], v7
	s_or_b64 vcc, s[0:1], vcc
	v_addc_co_u32_e32 v7, vcc, 0, v9, vcc
	v_mul_f64 v[5:6], v[5:6], s[2:3]
	v_cmp_gt_i32_e32 vcc, 31, v8
	v_cndmask_b32_e32 v7, v0, v7, vcc
	v_cmp_ne_u32_e32 vcc, 0, v3
	v_cndmask_b32_e64 v3, 0, 1, vcc
	v_lshl_or_b32 v3, v3, 9, v0
	v_cmp_eq_u32_e32 vcc, s10, v8
	v_cndmask_b32_e32 v3, v7, v3, vcc
	v_lshrrev_b32_e32 v4, 16, v4
	v_and_or_b32 v9, v4, s11, v3
	v_and_or_b32 v3, v6, s6, v5
	v_cmp_ne_u32_e32 vcc, 0, v3
	v_cndmask_b32_e64 v3, 0, 1, vcc
	v_lshrrev_b32_e32 v4, 8, v6
	v_and_or_b32 v5, v4, s7, v3
	v_bfe_u32 v4, v6, 20, 11
	v_sub_u32_e32 v7, 0x3f1, v4
	v_or_b32_e32 v3, 0x1000, v5
	v_med3_i32 v7, v7, 0, 13
	v_lshrrev_b32_e32 v8, v7, v3
	v_lshlrev_b32_e32 v7, v7, v8
	v_cmp_ne_u32_e32 vcc, v7, v3
	v_cndmask_b32_e64 v3, 0, 1, vcc
	v_add_u32_e32 v7, 0xfffffc10, v4
	v_or_b32_e32 v3, v8, v3
	v_lshl_or_b32 v4, v7, 12, v5
	v_cmp_gt_i32_e32 vcc, 1, v7
	v_cndmask_b32_e32 v3, v4, v3, vcc
	v_and_b32_e32 v4, 7, v3
	v_cmp_lt_i32_e32 vcc, 5, v4
	v_cmp_eq_u32_e64 s[0:1], 3, v4
	v_lshrrev_b32_e32 v3, 2, v3
	s_or_b64 vcc, s[0:1], vcc
	v_addc_co_u32_e32 v8, vcc, 0, v3, vcc
	v_add_u32_e32 v3, 0x400, v41
	ds_read2_b32 v[3:4], v3 offset0:152 offset1:254
	v_cmp_gt_i32_e32 vcc, 31, v7
	v_cndmask_b32_e32 v8, v0, v8, vcc
	v_cmp_ne_u32_e32 vcc, 0, v5
	v_cndmask_b32_e64 v5, 0, 1, vcc
	s_waitcnt lgkmcnt(0)
	v_lshrrev_b32_e32 v10, 16, v3
	v_mul_f16_sdwa v11, v54, v10 dst_sel:DWORD dst_unused:UNUSED_PAD src0_sel:WORD_1 src1_sel:DWORD
	v_fma_f16 v11, v54, v3, v11
	v_cvt_f32_f16_e32 v11, v11
	v_lshl_or_b32 v5, v5, 9, v0
	v_cmp_eq_u32_e32 vcc, s10, v7
	v_cndmask_b32_e32 v5, v8, v5, vcc
	v_cvt_f64_f32_e32 v[7:8], v11
	v_lshrrev_b32_e32 v6, 16, v6
	v_and_or_b32 v11, v6, s11, v5
	v_add_co_u32_e32 v1, vcc, s5, v1
	v_mul_f64 v[5:6], v[7:8], s[2:3]
	v_mov_b32_e32 v8, s4
	v_and_b32_e32 v9, 0xffff, v9
	v_addc_co_u32_e32 v2, vcc, v2, v8, vcc
	v_lshl_or_b32 v7, v11, 16, v9
	global_store_dword v[1:2], v7, off
	v_mul_f16_sdwa v3, v54, v3 dst_sel:DWORD dst_unused:UNUSED_PAD src0_sel:WORD_1 src1_sel:DWORD
	v_and_or_b32 v5, v6, s6, v5
	v_cmp_ne_u32_e32 vcc, 0, v5
	v_cndmask_b32_e64 v5, 0, 1, vcc
	v_lshrrev_b32_e32 v7, 8, v6
	v_bfe_u32 v8, v6, 20, 11
	v_and_or_b32 v5, v7, s7, v5
	v_sub_u32_e32 v9, 0x3f1, v8
	v_or_b32_e32 v7, 0x1000, v5
	v_med3_i32 v9, v9, 0, 13
	v_lshrrev_b32_e32 v11, v9, v7
	v_lshlrev_b32_e32 v9, v9, v11
	v_cmp_ne_u32_e32 vcc, v9, v7
	v_fma_f16 v3, v54, v10, -v3
	v_cndmask_b32_e64 v7, 0, 1, vcc
	v_add_u32_e32 v9, 0xfffffc10, v8
	v_cvt_f32_f16_e32 v3, v3
	v_or_b32_e32 v7, v11, v7
	v_lshl_or_b32 v8, v9, 12, v5
	v_cmp_gt_i32_e32 vcc, 1, v9
	v_cndmask_b32_e32 v7, v8, v7, vcc
	v_and_b32_e32 v8, 7, v7
	v_cmp_lt_i32_e32 vcc, 5, v8
	v_cmp_eq_u32_e64 s[0:1], 3, v8
	v_lshrrev_b32_e32 v10, 2, v7
	v_cvt_f64_f32_e32 v[7:8], v3
	s_or_b64 vcc, s[0:1], vcc
	v_addc_co_u32_e32 v3, vcc, 0, v10, vcc
	v_mul_f64 v[7:8], v[7:8], s[2:3]
	v_cmp_gt_i32_e32 vcc, 31, v9
	v_cndmask_b32_e32 v3, v0, v3, vcc
	v_cmp_ne_u32_e32 vcc, 0, v5
	v_cndmask_b32_e64 v5, 0, 1, vcc
	v_lshl_or_b32 v5, v5, 9, v0
	v_cmp_eq_u32_e32 vcc, s10, v9
	v_cndmask_b32_e32 v3, v3, v5, vcc
	v_lshrrev_b32_e32 v5, 16, v6
	v_and_or_b32 v3, v5, s11, v3
	v_and_or_b32 v5, v8, s6, v7
	v_cmp_ne_u32_e32 vcc, 0, v5
	v_cndmask_b32_e64 v5, 0, 1, vcc
	v_lshrrev_b32_e32 v6, 8, v8
	v_bfe_u32 v7, v8, 20, 11
	v_and_or_b32 v5, v6, s7, v5
	v_sub_u32_e32 v9, 0x3f1, v7
	v_or_b32_e32 v6, 0x1000, v5
	v_med3_i32 v9, v9, 0, 13
	v_lshrrev_b32_e32 v10, v9, v6
	v_lshlrev_b32_e32 v9, v9, v10
	v_cmp_ne_u32_e32 vcc, v9, v6
	v_cndmask_b32_e64 v6, 0, 1, vcc
	v_add_u32_e32 v7, 0xfffffc10, v7
	v_or_b32_e32 v6, v10, v6
	v_lshl_or_b32 v9, v7, 12, v5
	v_cmp_gt_i32_e32 vcc, 1, v7
	v_cndmask_b32_e32 v6, v9, v6, vcc
	v_and_b32_e32 v9, 7, v6
	v_cmp_lt_i32_e32 vcc, 5, v9
	v_cmp_eq_u32_e64 s[0:1], 3, v9
	v_lshrrev_b32_e32 v9, 16, v4
	v_lshrrev_b32_e32 v6, 2, v6
	s_or_b64 vcc, s[0:1], vcc
	v_mul_f16_sdwa v10, v53, v9 dst_sel:DWORD dst_unused:UNUSED_PAD src0_sel:WORD_1 src1_sel:DWORD
	v_addc_co_u32_e32 v6, vcc, 0, v6, vcc
	v_fma_f16 v10, v53, v4, v10
	v_cmp_gt_i32_e32 vcc, 31, v7
	v_cvt_f32_f16_e32 v10, v10
	v_cndmask_b32_e32 v6, v0, v6, vcc
	v_cmp_ne_u32_e32 vcc, 0, v5
	v_cndmask_b32_e64 v5, 0, 1, vcc
	v_lshl_or_b32 v5, v5, 9, v0
	v_cmp_eq_u32_e32 vcc, s10, v7
	v_cndmask_b32_e32 v7, v6, v5, vcc
	v_cvt_f64_f32_e32 v[5:6], v10
	v_lshrrev_b32_e32 v8, 16, v8
	v_and_or_b32 v7, v8, s11, v7
	v_and_b32_e32 v3, 0xffff, v3
	v_mul_f64 v[5:6], v[5:6], s[2:3]
	v_lshl_or_b32 v3, v7, 16, v3
	v_mov_b32_e32 v7, s4
	v_add_co_u32_e32 v1, vcc, s5, v1
	v_addc_co_u32_e32 v2, vcc, v2, v7, vcc
	global_store_dword v[1:2], v3, off
	v_and_or_b32 v3, v6, s6, v5
	v_cmp_ne_u32_e32 vcc, 0, v3
	v_cndmask_b32_e64 v3, 0, 1, vcc
	v_lshrrev_b32_e32 v5, 8, v6
	v_bfe_u32 v7, v6, 20, 11
	v_and_or_b32 v5, v5, s7, v3
	v_sub_u32_e32 v8, 0x3f1, v7
	v_or_b32_e32 v3, 0x1000, v5
	v_med3_i32 v8, v8, 0, 13
	v_lshrrev_b32_e32 v10, v8, v3
	v_lshlrev_b32_e32 v8, v8, v10
	v_mul_f16_sdwa v4, v53, v4 dst_sel:DWORD dst_unused:UNUSED_PAD src0_sel:WORD_1 src1_sel:DWORD
	v_cmp_ne_u32_e32 vcc, v8, v3
	v_fma_f16 v4, v53, v9, -v4
	v_cndmask_b32_e64 v3, 0, 1, vcc
	v_add_u32_e32 v7, 0xfffffc10, v7
	v_cvt_f32_f16_e32 v4, v4
	v_or_b32_e32 v3, v10, v3
	v_lshl_or_b32 v8, v7, 12, v5
	v_cmp_gt_i32_e32 vcc, 1, v7
	v_cndmask_b32_e32 v3, v8, v3, vcc
	v_and_b32_e32 v8, 7, v3
	v_cmp_lt_i32_e32 vcc, 5, v8
	v_cmp_eq_u32_e64 s[0:1], 3, v8
	v_lshrrev_b32_e32 v8, 2, v3
	v_cvt_f64_f32_e32 v[3:4], v4
	s_or_b64 vcc, s[0:1], vcc
	v_addc_co_u32_e32 v8, vcc, 0, v8, vcc
	v_mul_f64 v[3:4], v[3:4], s[2:3]
	v_cmp_gt_i32_e32 vcc, 31, v7
	v_cndmask_b32_e32 v8, v0, v8, vcc
	v_cmp_ne_u32_e32 vcc, 0, v5
	v_cndmask_b32_e64 v5, 0, 1, vcc
	v_lshl_or_b32 v5, v5, 9, v0
	v_cmp_eq_u32_e32 vcc, s10, v7
	v_cndmask_b32_e32 v5, v8, v5, vcc
	v_and_or_b32 v3, v4, s6, v3
	v_lshrrev_b32_e32 v6, 16, v6
	v_cmp_ne_u32_e32 vcc, 0, v3
	v_and_or_b32 v9, v6, s11, v5
	v_cndmask_b32_e64 v3, 0, 1, vcc
	v_lshrrev_b32_e32 v5, 8, v4
	v_bfe_u32 v6, v4, 20, 11
	v_and_or_b32 v3, v5, s7, v3
	v_sub_u32_e32 v7, 0x3f1, v6
	v_or_b32_e32 v5, 0x1000, v3
	v_med3_i32 v7, v7, 0, 13
	v_lshrrev_b32_e32 v8, v7, v5
	v_lshlrev_b32_e32 v7, v7, v8
	v_cmp_ne_u32_e32 vcc, v7, v5
	v_cndmask_b32_e64 v5, 0, 1, vcc
	v_add_u32_e32 v7, 0xfffffc10, v6
	v_or_b32_e32 v5, v8, v5
	v_lshl_or_b32 v6, v7, 12, v3
	v_cmp_gt_i32_e32 vcc, 1, v7
	v_cndmask_b32_e32 v5, v6, v5, vcc
	v_and_b32_e32 v6, 7, v5
	v_cmp_lt_i32_e32 vcc, 5, v6
	v_cmp_eq_u32_e64 s[0:1], 3, v6
	v_lshrrev_b32_e32 v5, 2, v5
	s_or_b64 vcc, s[0:1], vcc
	v_addc_co_u32_e32 v8, vcc, 0, v5, vcc
	v_add_u32_e32 v5, 0x800, v41
	ds_read2_b32 v[5:6], v5 offset0:100 offset1:202
	v_cmp_gt_i32_e32 vcc, 31, v7
	v_cndmask_b32_e32 v8, v0, v8, vcc
	v_cmp_ne_u32_e32 vcc, 0, v3
	v_cndmask_b32_e64 v3, 0, 1, vcc
	s_waitcnt lgkmcnt(0)
	v_lshrrev_b32_e32 v10, 16, v5
	v_mul_f16_sdwa v11, v52, v10 dst_sel:DWORD dst_unused:UNUSED_PAD src0_sel:WORD_1 src1_sel:DWORD
	v_fma_f16 v11, v52, v5, v11
	v_cvt_f32_f16_e32 v11, v11
	v_lshl_or_b32 v3, v3, 9, v0
	v_cmp_eq_u32_e32 vcc, s10, v7
	v_cndmask_b32_e32 v3, v8, v3, vcc
	v_cvt_f64_f32_e32 v[7:8], v11
	v_lshrrev_b32_e32 v4, 16, v4
	v_and_or_b32 v11, v4, s11, v3
	v_add_co_u32_e32 v1, vcc, s5, v1
	v_mul_f64 v[3:4], v[7:8], s[2:3]
	v_mov_b32_e32 v8, s4
	v_and_b32_e32 v9, 0xffff, v9
	v_addc_co_u32_e32 v2, vcc, v2, v8, vcc
	v_lshl_or_b32 v7, v11, 16, v9
	global_store_dword v[1:2], v7, off
	v_mul_f16_sdwa v5, v52, v5 dst_sel:DWORD dst_unused:UNUSED_PAD src0_sel:WORD_1 src1_sel:DWORD
	v_and_or_b32 v3, v4, s6, v3
	v_cmp_ne_u32_e32 vcc, 0, v3
	v_cndmask_b32_e64 v3, 0, 1, vcc
	v_lshrrev_b32_e32 v7, 8, v4
	v_bfe_u32 v8, v4, 20, 11
	v_and_or_b32 v3, v7, s7, v3
	v_sub_u32_e32 v9, 0x3f1, v8
	v_or_b32_e32 v7, 0x1000, v3
	v_med3_i32 v9, v9, 0, 13
	v_lshrrev_b32_e32 v11, v9, v7
	v_lshlrev_b32_e32 v9, v9, v11
	v_cmp_ne_u32_e32 vcc, v9, v7
	v_fma_f16 v5, v52, v10, -v5
	v_cndmask_b32_e64 v7, 0, 1, vcc
	v_add_u32_e32 v9, 0xfffffc10, v8
	v_cvt_f32_f16_e32 v5, v5
	v_or_b32_e32 v7, v11, v7
	v_lshl_or_b32 v8, v9, 12, v3
	v_cmp_gt_i32_e32 vcc, 1, v9
	v_cndmask_b32_e32 v7, v8, v7, vcc
	v_and_b32_e32 v8, 7, v7
	v_cmp_lt_i32_e32 vcc, 5, v8
	v_cmp_eq_u32_e64 s[0:1], 3, v8
	v_lshrrev_b32_e32 v10, 2, v7
	v_cvt_f64_f32_e32 v[7:8], v5
	s_or_b64 vcc, s[0:1], vcc
	v_addc_co_u32_e32 v5, vcc, 0, v10, vcc
	v_mul_f64 v[7:8], v[7:8], s[2:3]
	v_cmp_gt_i32_e32 vcc, 31, v9
	v_cndmask_b32_e32 v5, v0, v5, vcc
	v_cmp_ne_u32_e32 vcc, 0, v3
	v_cndmask_b32_e64 v3, 0, 1, vcc
	v_lshl_or_b32 v3, v3, 9, v0
	v_cmp_eq_u32_e32 vcc, s10, v9
	v_cndmask_b32_e32 v3, v5, v3, vcc
	v_lshrrev_b32_e32 v4, 16, v4
	v_and_or_b32 v5, v4, s11, v3
	v_and_or_b32 v3, v8, s6, v7
	v_cmp_ne_u32_e32 vcc, 0, v3
	v_cndmask_b32_e64 v3, 0, 1, vcc
	v_lshrrev_b32_e32 v4, 8, v8
	v_bfe_u32 v7, v8, 20, 11
	v_and_or_b32 v3, v4, s7, v3
	v_sub_u32_e32 v9, 0x3f1, v7
	v_or_b32_e32 v4, 0x1000, v3
	v_med3_i32 v9, v9, 0, 13
	v_lshrrev_b32_e32 v10, v9, v4
	v_lshlrev_b32_e32 v9, v9, v10
	v_cmp_ne_u32_e32 vcc, v9, v4
	v_cndmask_b32_e64 v4, 0, 1, vcc
	v_add_u32_e32 v7, 0xfffffc10, v7
	v_or_b32_e32 v4, v10, v4
	v_lshl_or_b32 v9, v7, 12, v3
	v_cmp_gt_i32_e32 vcc, 1, v7
	v_cndmask_b32_e32 v4, v9, v4, vcc
	v_and_b32_e32 v9, 7, v4
	v_cmp_lt_i32_e32 vcc, 5, v9
	v_cmp_eq_u32_e64 s[0:1], 3, v9
	v_lshrrev_b32_e32 v9, 16, v6
	v_lshrrev_b32_e32 v4, 2, v4
	s_or_b64 vcc, s[0:1], vcc
	v_mul_f16_sdwa v10, v51, v9 dst_sel:DWORD dst_unused:UNUSED_PAD src0_sel:WORD_1 src1_sel:DWORD
	v_addc_co_u32_e32 v4, vcc, 0, v4, vcc
	v_fma_f16 v10, v51, v6, v10
	v_cmp_gt_i32_e32 vcc, 31, v7
	v_cvt_f32_f16_e32 v10, v10
	v_cndmask_b32_e32 v4, v0, v4, vcc
	v_cmp_ne_u32_e32 vcc, 0, v3
	v_cndmask_b32_e64 v3, 0, 1, vcc
	v_lshl_or_b32 v3, v3, 9, v0
	v_cmp_eq_u32_e32 vcc, s10, v7
	v_cndmask_b32_e32 v7, v4, v3, vcc
	v_cvt_f64_f32_e32 v[3:4], v10
	v_lshrrev_b32_e32 v8, 16, v8
	v_and_or_b32 v7, v8, s11, v7
	v_and_b32_e32 v5, 0xffff, v5
	v_mul_f64 v[3:4], v[3:4], s[2:3]
	v_lshl_or_b32 v5, v7, 16, v5
	v_mov_b32_e32 v7, s4
	v_add_co_u32_e32 v1, vcc, s5, v1
	v_addc_co_u32_e32 v2, vcc, v2, v7, vcc
	global_store_dword v[1:2], v5, off
	v_and_or_b32 v3, v4, s6, v3
	v_cmp_ne_u32_e32 vcc, 0, v3
	v_cndmask_b32_e64 v3, 0, 1, vcc
	v_lshrrev_b32_e32 v5, 8, v4
	v_bfe_u32 v7, v4, 20, 11
	v_and_or_b32 v3, v5, s7, v3
	v_sub_u32_e32 v8, 0x3f1, v7
	v_or_b32_e32 v5, 0x1000, v3
	v_med3_i32 v8, v8, 0, 13
	v_lshrrev_b32_e32 v10, v8, v5
	v_lshlrev_b32_e32 v8, v8, v10
	v_mul_f16_sdwa v6, v51, v6 dst_sel:DWORD dst_unused:UNUSED_PAD src0_sel:WORD_1 src1_sel:DWORD
	v_cmp_ne_u32_e32 vcc, v8, v5
	v_fma_f16 v6, v51, v9, -v6
	v_cndmask_b32_e64 v5, 0, 1, vcc
	v_add_u32_e32 v7, 0xfffffc10, v7
	v_cvt_f32_f16_e32 v6, v6
	v_or_b32_e32 v5, v10, v5
	v_lshl_or_b32 v8, v7, 12, v3
	v_cmp_gt_i32_e32 vcc, 1, v7
	v_cndmask_b32_e32 v5, v8, v5, vcc
	v_and_b32_e32 v8, 7, v5
	v_cmp_lt_i32_e32 vcc, 5, v8
	v_cmp_eq_u32_e64 s[0:1], 3, v8
	v_lshrrev_b32_e32 v8, 2, v5
	v_cvt_f64_f32_e32 v[5:6], v6
	s_or_b64 vcc, s[0:1], vcc
	v_addc_co_u32_e32 v8, vcc, 0, v8, vcc
	v_mul_f64 v[5:6], v[5:6], s[2:3]
	v_cmp_gt_i32_e32 vcc, 31, v7
	v_cndmask_b32_e32 v8, v0, v8, vcc
	v_cmp_ne_u32_e32 vcc, 0, v3
	v_cndmask_b32_e64 v3, 0, 1, vcc
	v_lshl_or_b32 v3, v3, 9, v0
	v_cmp_eq_u32_e32 vcc, s10, v7
	v_cndmask_b32_e32 v3, v8, v3, vcc
	v_lshrrev_b32_e32 v4, 16, v4
	v_and_or_b32 v9, v4, s11, v3
	v_and_or_b32 v3, v6, s6, v5
	v_cmp_ne_u32_e32 vcc, 0, v3
	v_cndmask_b32_e64 v3, 0, 1, vcc
	v_lshrrev_b32_e32 v4, 8, v6
	v_and_or_b32 v5, v4, s7, v3
	v_bfe_u32 v4, v6, 20, 11
	v_sub_u32_e32 v7, 0x3f1, v4
	v_or_b32_e32 v3, 0x1000, v5
	v_med3_i32 v7, v7, 0, 13
	v_lshrrev_b32_e32 v8, v7, v3
	v_lshlrev_b32_e32 v7, v7, v8
	v_cmp_ne_u32_e32 vcc, v7, v3
	v_cndmask_b32_e64 v3, 0, 1, vcc
	v_add_u32_e32 v7, 0xfffffc10, v4
	v_or_b32_e32 v3, v8, v3
	v_lshl_or_b32 v4, v7, 12, v5
	v_cmp_gt_i32_e32 vcc, 1, v7
	v_cndmask_b32_e32 v3, v4, v3, vcc
	v_and_b32_e32 v4, 7, v3
	v_cmp_lt_i32_e32 vcc, 5, v4
	v_cmp_eq_u32_e64 s[0:1], 3, v4
	v_lshrrev_b32_e32 v3, 2, v3
	s_or_b64 vcc, s[0:1], vcc
	v_addc_co_u32_e32 v8, vcc, 0, v3, vcc
	v_add_u32_e32 v3, 0xc00, v41
	ds_read2_b32 v[3:4], v3 offset0:48 offset1:150
	v_cmp_gt_i32_e32 vcc, 31, v7
	v_cndmask_b32_e32 v8, v0, v8, vcc
	v_cmp_ne_u32_e32 vcc, 0, v5
	v_cndmask_b32_e64 v5, 0, 1, vcc
	s_waitcnt lgkmcnt(0)
	v_lshrrev_b32_e32 v10, 16, v3
	v_mul_f16_sdwa v11, v50, v10 dst_sel:DWORD dst_unused:UNUSED_PAD src0_sel:WORD_1 src1_sel:DWORD
	v_fma_f16 v11, v50, v3, v11
	v_cvt_f32_f16_e32 v11, v11
	v_lshl_or_b32 v5, v5, 9, v0
	v_cmp_eq_u32_e32 vcc, s10, v7
	v_cndmask_b32_e32 v5, v8, v5, vcc
	v_cvt_f64_f32_e32 v[7:8], v11
	v_lshrrev_b32_e32 v6, 16, v6
	v_and_or_b32 v11, v6, s11, v5
	v_add_co_u32_e32 v1, vcc, s5, v1
	v_mul_f64 v[5:6], v[7:8], s[2:3]
	v_mov_b32_e32 v8, s4
	v_and_b32_e32 v9, 0xffff, v9
	v_addc_co_u32_e32 v2, vcc, v2, v8, vcc
	v_lshl_or_b32 v7, v11, 16, v9
	global_store_dword v[1:2], v7, off
	v_mul_f16_sdwa v3, v50, v3 dst_sel:DWORD dst_unused:UNUSED_PAD src0_sel:WORD_1 src1_sel:DWORD
	v_and_or_b32 v5, v6, s6, v5
	v_cmp_ne_u32_e32 vcc, 0, v5
	v_cndmask_b32_e64 v5, 0, 1, vcc
	v_lshrrev_b32_e32 v7, 8, v6
	v_bfe_u32 v8, v6, 20, 11
	v_and_or_b32 v5, v7, s7, v5
	v_sub_u32_e32 v9, 0x3f1, v8
	v_or_b32_e32 v7, 0x1000, v5
	v_med3_i32 v9, v9, 0, 13
	v_lshrrev_b32_e32 v11, v9, v7
	v_lshlrev_b32_e32 v9, v9, v11
	v_cmp_ne_u32_e32 vcc, v9, v7
	v_fma_f16 v3, v50, v10, -v3
	v_cndmask_b32_e64 v7, 0, 1, vcc
	v_add_u32_e32 v9, 0xfffffc10, v8
	v_cvt_f32_f16_e32 v3, v3
	v_or_b32_e32 v7, v11, v7
	v_lshl_or_b32 v8, v9, 12, v5
	v_cmp_gt_i32_e32 vcc, 1, v9
	v_cndmask_b32_e32 v7, v8, v7, vcc
	v_and_b32_e32 v8, 7, v7
	v_cmp_lt_i32_e32 vcc, 5, v8
	v_cmp_eq_u32_e64 s[0:1], 3, v8
	v_lshrrev_b32_e32 v10, 2, v7
	v_cvt_f64_f32_e32 v[7:8], v3
	s_or_b64 vcc, s[0:1], vcc
	v_addc_co_u32_e32 v3, vcc, 0, v10, vcc
	v_mul_f64 v[7:8], v[7:8], s[2:3]
	v_cmp_gt_i32_e32 vcc, 31, v9
	v_cndmask_b32_e32 v3, v0, v3, vcc
	v_cmp_ne_u32_e32 vcc, 0, v5
	v_cndmask_b32_e64 v5, 0, 1, vcc
	v_lshl_or_b32 v5, v5, 9, v0
	v_cmp_eq_u32_e32 vcc, s10, v9
	v_cndmask_b32_e32 v3, v3, v5, vcc
	v_lshrrev_b32_e32 v5, 16, v6
	v_and_or_b32 v3, v5, s11, v3
	v_and_or_b32 v5, v8, s6, v7
	v_cmp_ne_u32_e32 vcc, 0, v5
	v_cndmask_b32_e64 v5, 0, 1, vcc
	v_lshrrev_b32_e32 v6, 8, v8
	v_bfe_u32 v7, v8, 20, 11
	v_and_or_b32 v5, v6, s7, v5
	v_sub_u32_e32 v9, 0x3f1, v7
	v_or_b32_e32 v6, 0x1000, v5
	v_med3_i32 v9, v9, 0, 13
	v_lshrrev_b32_e32 v10, v9, v6
	v_lshlrev_b32_e32 v9, v9, v10
	v_cmp_ne_u32_e32 vcc, v9, v6
	v_cndmask_b32_e64 v6, 0, 1, vcc
	v_add_u32_e32 v7, 0xfffffc10, v7
	v_or_b32_e32 v6, v10, v6
	v_lshl_or_b32 v9, v7, 12, v5
	v_cmp_gt_i32_e32 vcc, 1, v7
	v_cndmask_b32_e32 v6, v9, v6, vcc
	v_and_b32_e32 v9, 7, v6
	v_cmp_lt_i32_e32 vcc, 5, v9
	v_cmp_eq_u32_e64 s[0:1], 3, v9
	v_lshrrev_b32_e32 v9, 16, v4
	v_lshrrev_b32_e32 v6, 2, v6
	s_or_b64 vcc, s[0:1], vcc
	v_mul_f16_sdwa v10, v49, v9 dst_sel:DWORD dst_unused:UNUSED_PAD src0_sel:WORD_1 src1_sel:DWORD
	v_addc_co_u32_e32 v6, vcc, 0, v6, vcc
	v_fma_f16 v10, v49, v4, v10
	v_cmp_gt_i32_e32 vcc, 31, v7
	v_cvt_f32_f16_e32 v10, v10
	v_cndmask_b32_e32 v6, v0, v6, vcc
	v_cmp_ne_u32_e32 vcc, 0, v5
	v_cndmask_b32_e64 v5, 0, 1, vcc
	v_lshl_or_b32 v5, v5, 9, v0
	v_cmp_eq_u32_e32 vcc, s10, v7
	v_cndmask_b32_e32 v7, v6, v5, vcc
	v_cvt_f64_f32_e32 v[5:6], v10
	v_lshrrev_b32_e32 v8, 16, v8
	v_and_or_b32 v7, v8, s11, v7
	v_and_b32_e32 v3, 0xffff, v3
	v_mul_f64 v[5:6], v[5:6], s[2:3]
	v_lshl_or_b32 v3, v7, 16, v3
	v_mov_b32_e32 v7, s4
	v_add_co_u32_e32 v1, vcc, s5, v1
	v_addc_co_u32_e32 v2, vcc, v2, v7, vcc
	global_store_dword v[1:2], v3, off
	v_and_or_b32 v3, v6, s6, v5
	v_cmp_ne_u32_e32 vcc, 0, v3
	v_cndmask_b32_e64 v3, 0, 1, vcc
	v_lshrrev_b32_e32 v5, 8, v6
	v_bfe_u32 v7, v6, 20, 11
	v_and_or_b32 v5, v5, s7, v3
	v_sub_u32_e32 v8, 0x3f1, v7
	v_or_b32_e32 v3, 0x1000, v5
	v_med3_i32 v8, v8, 0, 13
	v_lshrrev_b32_e32 v10, v8, v3
	v_lshlrev_b32_e32 v8, v8, v10
	v_mul_f16_sdwa v4, v49, v4 dst_sel:DWORD dst_unused:UNUSED_PAD src0_sel:WORD_1 src1_sel:DWORD
	v_cmp_ne_u32_e32 vcc, v8, v3
	v_fma_f16 v4, v49, v9, -v4
	v_cndmask_b32_e64 v3, 0, 1, vcc
	v_add_u32_e32 v7, 0xfffffc10, v7
	v_cvt_f32_f16_e32 v4, v4
	v_or_b32_e32 v3, v10, v3
	v_lshl_or_b32 v8, v7, 12, v5
	v_cmp_gt_i32_e32 vcc, 1, v7
	v_cndmask_b32_e32 v3, v8, v3, vcc
	v_and_b32_e32 v8, 7, v3
	v_cmp_lt_i32_e32 vcc, 5, v8
	v_cmp_eq_u32_e64 s[0:1], 3, v8
	v_lshrrev_b32_e32 v8, 2, v3
	v_cvt_f64_f32_e32 v[3:4], v4
	s_or_b64 vcc, s[0:1], vcc
	v_addc_co_u32_e32 v8, vcc, 0, v8, vcc
	v_mul_f64 v[3:4], v[3:4], s[2:3]
	v_cmp_gt_i32_e32 vcc, 31, v7
	v_cndmask_b32_e32 v8, v0, v8, vcc
	v_cmp_ne_u32_e32 vcc, 0, v5
	v_cndmask_b32_e64 v5, 0, 1, vcc
	v_lshl_or_b32 v5, v5, 9, v0
	v_cmp_eq_u32_e32 vcc, s10, v7
	v_cndmask_b32_e32 v5, v8, v5, vcc
	v_and_or_b32 v3, v4, s6, v3
	v_lshrrev_b32_e32 v6, 16, v6
	v_cmp_ne_u32_e32 vcc, 0, v3
	v_and_or_b32 v9, v6, s11, v5
	v_cndmask_b32_e64 v3, 0, 1, vcc
	v_lshrrev_b32_e32 v5, 8, v4
	v_bfe_u32 v6, v4, 20, 11
	v_and_or_b32 v3, v5, s7, v3
	v_sub_u32_e32 v7, 0x3f1, v6
	v_or_b32_e32 v5, 0x1000, v3
	v_med3_i32 v7, v7, 0, 13
	v_lshrrev_b32_e32 v8, v7, v5
	v_lshlrev_b32_e32 v7, v7, v8
	v_cmp_ne_u32_e32 vcc, v7, v5
	v_cndmask_b32_e64 v5, 0, 1, vcc
	v_add_u32_e32 v7, 0xfffffc10, v6
	v_or_b32_e32 v5, v8, v5
	v_lshl_or_b32 v6, v7, 12, v3
	v_cmp_gt_i32_e32 vcc, 1, v7
	v_cndmask_b32_e32 v5, v6, v5, vcc
	v_and_b32_e32 v6, 7, v5
	v_cmp_lt_i32_e32 vcc, 5, v6
	v_cmp_eq_u32_e64 s[0:1], 3, v6
	v_lshrrev_b32_e32 v5, 2, v5
	s_or_b64 vcc, s[0:1], vcc
	v_addc_co_u32_e32 v8, vcc, 0, v5, vcc
	v_add_u32_e32 v5, 0xe00, v41
	ds_read2_b32 v[5:6], v5 offset0:124 offset1:226
	v_cmp_gt_i32_e32 vcc, 31, v7
	v_cndmask_b32_e32 v8, v0, v8, vcc
	v_cmp_ne_u32_e32 vcc, 0, v3
	v_cndmask_b32_e64 v3, 0, 1, vcc
	s_waitcnt lgkmcnt(0)
	v_lshrrev_b32_e32 v10, 16, v5
	v_mul_f16_sdwa v11, v48, v10 dst_sel:DWORD dst_unused:UNUSED_PAD src0_sel:WORD_1 src1_sel:DWORD
	v_fma_f16 v11, v48, v5, v11
	v_cvt_f32_f16_e32 v11, v11
	v_lshl_or_b32 v3, v3, 9, v0
	v_cmp_eq_u32_e32 vcc, s10, v7
	v_cndmask_b32_e32 v3, v8, v3, vcc
	v_cvt_f64_f32_e32 v[7:8], v11
	v_lshrrev_b32_e32 v4, 16, v4
	v_and_or_b32 v11, v4, s11, v3
	v_add_co_u32_e32 v1, vcc, s5, v1
	v_mul_f64 v[3:4], v[7:8], s[2:3]
	v_mov_b32_e32 v8, s4
	v_and_b32_e32 v9, 0xffff, v9
	v_addc_co_u32_e32 v2, vcc, v2, v8, vcc
	v_lshl_or_b32 v7, v11, 16, v9
	global_store_dword v[1:2], v7, off
	v_mul_f16_sdwa v5, v48, v5 dst_sel:DWORD dst_unused:UNUSED_PAD src0_sel:WORD_1 src1_sel:DWORD
	v_and_or_b32 v3, v4, s6, v3
	v_cmp_ne_u32_e32 vcc, 0, v3
	v_cndmask_b32_e64 v3, 0, 1, vcc
	v_lshrrev_b32_e32 v7, 8, v4
	v_bfe_u32 v8, v4, 20, 11
	v_and_or_b32 v3, v7, s7, v3
	v_sub_u32_e32 v9, 0x3f1, v8
	v_or_b32_e32 v7, 0x1000, v3
	v_med3_i32 v9, v9, 0, 13
	v_lshrrev_b32_e32 v11, v9, v7
	v_lshlrev_b32_e32 v9, v9, v11
	v_cmp_ne_u32_e32 vcc, v9, v7
	v_fma_f16 v5, v48, v10, -v5
	v_cndmask_b32_e64 v7, 0, 1, vcc
	v_add_u32_e32 v9, 0xfffffc10, v8
	v_cvt_f32_f16_e32 v5, v5
	v_or_b32_e32 v7, v11, v7
	v_lshl_or_b32 v8, v9, 12, v3
	v_cmp_gt_i32_e32 vcc, 1, v9
	v_cndmask_b32_e32 v7, v8, v7, vcc
	v_and_b32_e32 v8, 7, v7
	v_cmp_lt_i32_e32 vcc, 5, v8
	v_cmp_eq_u32_e64 s[0:1], 3, v8
	v_lshrrev_b32_e32 v10, 2, v7
	v_cvt_f64_f32_e32 v[7:8], v5
	s_or_b64 vcc, s[0:1], vcc
	v_addc_co_u32_e32 v5, vcc, 0, v10, vcc
	v_mul_f64 v[7:8], v[7:8], s[2:3]
	v_cmp_gt_i32_e32 vcc, 31, v9
	v_cndmask_b32_e32 v5, v0, v5, vcc
	v_cmp_ne_u32_e32 vcc, 0, v3
	v_cndmask_b32_e64 v3, 0, 1, vcc
	v_lshl_or_b32 v3, v3, 9, v0
	v_cmp_eq_u32_e32 vcc, s10, v9
	v_cndmask_b32_e32 v3, v5, v3, vcc
	v_lshrrev_b32_e32 v4, 16, v4
	v_and_or_b32 v5, v4, s11, v3
	v_and_or_b32 v3, v8, s6, v7
	v_cmp_ne_u32_e32 vcc, 0, v3
	v_cndmask_b32_e64 v3, 0, 1, vcc
	v_lshrrev_b32_e32 v4, 8, v8
	v_bfe_u32 v7, v8, 20, 11
	v_and_or_b32 v3, v4, s7, v3
	v_sub_u32_e32 v9, 0x3f1, v7
	v_or_b32_e32 v4, 0x1000, v3
	v_med3_i32 v9, v9, 0, 13
	v_lshrrev_b32_e32 v10, v9, v4
	v_lshlrev_b32_e32 v9, v9, v10
	v_cmp_ne_u32_e32 vcc, v9, v4
	v_cndmask_b32_e64 v4, 0, 1, vcc
	v_add_u32_e32 v7, 0xfffffc10, v7
	v_or_b32_e32 v4, v10, v4
	v_lshl_or_b32 v9, v7, 12, v3
	v_cmp_gt_i32_e32 vcc, 1, v7
	v_cndmask_b32_e32 v4, v9, v4, vcc
	v_and_b32_e32 v9, 7, v4
	v_cmp_lt_i32_e32 vcc, 5, v9
	v_cmp_eq_u32_e64 s[0:1], 3, v9
	v_lshrrev_b32_e32 v9, 16, v6
	v_lshrrev_b32_e32 v4, 2, v4
	s_or_b64 vcc, s[0:1], vcc
	v_mul_f16_sdwa v10, v47, v9 dst_sel:DWORD dst_unused:UNUSED_PAD src0_sel:WORD_1 src1_sel:DWORD
	v_addc_co_u32_e32 v4, vcc, 0, v4, vcc
	v_fma_f16 v10, v47, v6, v10
	v_cmp_gt_i32_e32 vcc, 31, v7
	v_cvt_f32_f16_e32 v10, v10
	v_cndmask_b32_e32 v4, v0, v4, vcc
	v_cmp_ne_u32_e32 vcc, 0, v3
	v_cndmask_b32_e64 v3, 0, 1, vcc
	v_lshl_or_b32 v3, v3, 9, v0
	v_cmp_eq_u32_e32 vcc, s10, v7
	v_cndmask_b32_e32 v7, v4, v3, vcc
	v_cvt_f64_f32_e32 v[3:4], v10
	v_lshrrev_b32_e32 v8, 16, v8
	v_and_or_b32 v7, v8, s11, v7
	v_and_b32_e32 v5, 0xffff, v5
	v_mul_f64 v[3:4], v[3:4], s[2:3]
	v_lshl_or_b32 v5, v7, 16, v5
	v_mov_b32_e32 v7, s4
	v_add_co_u32_e32 v1, vcc, s5, v1
	v_addc_co_u32_e32 v2, vcc, v2, v7, vcc
	global_store_dword v[1:2], v5, off
	v_and_or_b32 v3, v4, s6, v3
	v_cmp_ne_u32_e32 vcc, 0, v3
	v_cndmask_b32_e64 v3, 0, 1, vcc
	v_lshrrev_b32_e32 v5, 8, v4
	v_bfe_u32 v7, v4, 20, 11
	v_and_or_b32 v3, v5, s7, v3
	v_sub_u32_e32 v8, 0x3f1, v7
	v_or_b32_e32 v5, 0x1000, v3
	v_med3_i32 v8, v8, 0, 13
	v_lshrrev_b32_e32 v10, v8, v5
	v_lshlrev_b32_e32 v8, v8, v10
	v_mul_f16_sdwa v6, v47, v6 dst_sel:DWORD dst_unused:UNUSED_PAD src0_sel:WORD_1 src1_sel:DWORD
	v_cmp_ne_u32_e32 vcc, v8, v5
	v_fma_f16 v6, v47, v9, -v6
	v_cndmask_b32_e64 v5, 0, 1, vcc
	v_add_u32_e32 v7, 0xfffffc10, v7
	v_cvt_f32_f16_e32 v6, v6
	v_or_b32_e32 v5, v10, v5
	v_lshl_or_b32 v8, v7, 12, v3
	v_cmp_gt_i32_e32 vcc, 1, v7
	v_cndmask_b32_e32 v5, v8, v5, vcc
	v_and_b32_e32 v8, 7, v5
	v_cmp_lt_i32_e32 vcc, 5, v8
	v_cmp_eq_u32_e64 s[0:1], 3, v8
	v_lshrrev_b32_e32 v8, 2, v5
	v_cvt_f64_f32_e32 v[5:6], v6
	s_or_b64 vcc, s[0:1], vcc
	v_addc_co_u32_e32 v8, vcc, 0, v8, vcc
	v_mul_f64 v[5:6], v[5:6], s[2:3]
	v_cmp_gt_i32_e32 vcc, 31, v7
	v_cndmask_b32_e32 v8, v0, v8, vcc
	v_cmp_ne_u32_e32 vcc, 0, v3
	v_cndmask_b32_e64 v3, 0, 1, vcc
	v_lshl_or_b32 v3, v3, 9, v0
	v_cmp_eq_u32_e32 vcc, s10, v7
	v_cndmask_b32_e32 v3, v8, v3, vcc
	v_lshrrev_b32_e32 v4, 16, v4
	v_and_or_b32 v9, v4, s11, v3
	v_and_or_b32 v3, v6, s6, v5
	v_cmp_ne_u32_e32 vcc, 0, v3
	v_cndmask_b32_e64 v3, 0, 1, vcc
	v_lshrrev_b32_e32 v4, 8, v6
	v_and_or_b32 v5, v4, s7, v3
	v_bfe_u32 v4, v6, 20, 11
	v_sub_u32_e32 v7, 0x3f1, v4
	v_or_b32_e32 v3, 0x1000, v5
	v_med3_i32 v7, v7, 0, 13
	v_lshrrev_b32_e32 v8, v7, v3
	v_lshlrev_b32_e32 v7, v7, v8
	v_cmp_ne_u32_e32 vcc, v7, v3
	v_cndmask_b32_e64 v3, 0, 1, vcc
	v_add_u32_e32 v7, 0xfffffc10, v4
	v_or_b32_e32 v3, v8, v3
	v_lshl_or_b32 v4, v7, 12, v5
	v_cmp_gt_i32_e32 vcc, 1, v7
	v_cndmask_b32_e32 v3, v4, v3, vcc
	v_and_b32_e32 v4, 7, v3
	v_cmp_lt_i32_e32 vcc, 5, v4
	v_cmp_eq_u32_e64 s[0:1], 3, v4
	v_lshrrev_b32_e32 v3, 2, v3
	s_or_b64 vcc, s[0:1], vcc
	v_addc_co_u32_e32 v8, vcc, 0, v3, vcc
	v_add_u32_e32 v3, 0x1200, v41
	ds_read2_b32 v[3:4], v3 offset0:72 offset1:174
	v_cmp_gt_i32_e32 vcc, 31, v7
	v_cndmask_b32_e32 v8, v0, v8, vcc
	v_cmp_ne_u32_e32 vcc, 0, v5
	v_cndmask_b32_e64 v5, 0, 1, vcc
	s_waitcnt lgkmcnt(0)
	v_lshrrev_b32_e32 v10, 16, v3
	v_mul_f16_sdwa v11, v46, v10 dst_sel:DWORD dst_unused:UNUSED_PAD src0_sel:WORD_1 src1_sel:DWORD
	v_fma_f16 v11, v46, v3, v11
	v_cvt_f32_f16_e32 v11, v11
	v_lshl_or_b32 v5, v5, 9, v0
	v_cmp_eq_u32_e32 vcc, s10, v7
	v_cndmask_b32_e32 v5, v8, v5, vcc
	v_cvt_f64_f32_e32 v[7:8], v11
	v_lshrrev_b32_e32 v6, 16, v6
	v_and_or_b32 v11, v6, s11, v5
	v_add_co_u32_e32 v1, vcc, s5, v1
	v_mul_f64 v[5:6], v[7:8], s[2:3]
	v_mov_b32_e32 v8, s4
	v_and_b32_e32 v9, 0xffff, v9
	v_addc_co_u32_e32 v2, vcc, v2, v8, vcc
	v_lshl_or_b32 v7, v11, 16, v9
	global_store_dword v[1:2], v7, off
	v_mul_f16_sdwa v3, v46, v3 dst_sel:DWORD dst_unused:UNUSED_PAD src0_sel:WORD_1 src1_sel:DWORD
	v_and_or_b32 v5, v6, s6, v5
	v_cmp_ne_u32_e32 vcc, 0, v5
	v_cndmask_b32_e64 v5, 0, 1, vcc
	v_lshrrev_b32_e32 v7, 8, v6
	v_bfe_u32 v8, v6, 20, 11
	v_and_or_b32 v5, v7, s7, v5
	v_sub_u32_e32 v9, 0x3f1, v8
	v_or_b32_e32 v7, 0x1000, v5
	v_med3_i32 v9, v9, 0, 13
	v_lshrrev_b32_e32 v11, v9, v7
	v_lshlrev_b32_e32 v9, v9, v11
	v_cmp_ne_u32_e32 vcc, v9, v7
	v_fma_f16 v3, v46, v10, -v3
	v_cndmask_b32_e64 v7, 0, 1, vcc
	v_add_u32_e32 v9, 0xfffffc10, v8
	v_cvt_f32_f16_e32 v3, v3
	v_or_b32_e32 v7, v11, v7
	v_lshl_or_b32 v8, v9, 12, v5
	v_cmp_gt_i32_e32 vcc, 1, v9
	v_cndmask_b32_e32 v7, v8, v7, vcc
	v_and_b32_e32 v8, 7, v7
	v_cmp_lt_i32_e32 vcc, 5, v8
	v_cmp_eq_u32_e64 s[0:1], 3, v8
	v_lshrrev_b32_e32 v10, 2, v7
	v_cvt_f64_f32_e32 v[7:8], v3
	s_or_b64 vcc, s[0:1], vcc
	v_addc_co_u32_e32 v3, vcc, 0, v10, vcc
	v_mul_f64 v[7:8], v[7:8], s[2:3]
	v_cmp_gt_i32_e32 vcc, 31, v9
	v_cndmask_b32_e32 v3, v0, v3, vcc
	v_cmp_ne_u32_e32 vcc, 0, v5
	v_cndmask_b32_e64 v5, 0, 1, vcc
	v_lshl_or_b32 v5, v5, 9, v0
	v_cmp_eq_u32_e32 vcc, s10, v9
	v_cndmask_b32_e32 v3, v3, v5, vcc
	v_lshrrev_b32_e32 v5, 16, v6
	v_and_or_b32 v3, v5, s11, v3
	v_and_or_b32 v5, v8, s6, v7
	v_cmp_ne_u32_e32 vcc, 0, v5
	v_cndmask_b32_e64 v5, 0, 1, vcc
	v_lshrrev_b32_e32 v6, 8, v8
	v_bfe_u32 v7, v8, 20, 11
	v_and_or_b32 v5, v6, s7, v5
	v_sub_u32_e32 v9, 0x3f1, v7
	v_or_b32_e32 v6, 0x1000, v5
	v_med3_i32 v9, v9, 0, 13
	v_lshrrev_b32_e32 v10, v9, v6
	v_lshlrev_b32_e32 v9, v9, v10
	v_cmp_ne_u32_e32 vcc, v9, v6
	v_cndmask_b32_e64 v6, 0, 1, vcc
	v_add_u32_e32 v7, 0xfffffc10, v7
	v_or_b32_e32 v6, v10, v6
	v_lshl_or_b32 v9, v7, 12, v5
	v_cmp_gt_i32_e32 vcc, 1, v7
	v_cndmask_b32_e32 v6, v9, v6, vcc
	v_and_b32_e32 v9, 7, v6
	v_cmp_lt_i32_e32 vcc, 5, v9
	v_cmp_eq_u32_e64 s[0:1], 3, v9
	v_lshrrev_b32_e32 v9, 16, v4
	v_lshrrev_b32_e32 v6, 2, v6
	s_or_b64 vcc, s[0:1], vcc
	v_mul_f16_sdwa v10, v45, v9 dst_sel:DWORD dst_unused:UNUSED_PAD src0_sel:WORD_1 src1_sel:DWORD
	v_addc_co_u32_e32 v6, vcc, 0, v6, vcc
	v_fma_f16 v10, v45, v4, v10
	v_cmp_gt_i32_e32 vcc, 31, v7
	v_cvt_f32_f16_e32 v10, v10
	v_cndmask_b32_e32 v6, v0, v6, vcc
	v_cmp_ne_u32_e32 vcc, 0, v5
	v_cndmask_b32_e64 v5, 0, 1, vcc
	v_lshl_or_b32 v5, v5, 9, v0
	v_cmp_eq_u32_e32 vcc, s10, v7
	v_cndmask_b32_e32 v7, v6, v5, vcc
	v_cvt_f64_f32_e32 v[5:6], v10
	v_lshrrev_b32_e32 v8, 16, v8
	v_and_or_b32 v7, v8, s11, v7
	v_and_b32_e32 v3, 0xffff, v3
	v_mul_f64 v[5:6], v[5:6], s[2:3]
	v_lshl_or_b32 v3, v7, 16, v3
	v_mov_b32_e32 v7, s4
	v_add_co_u32_e32 v1, vcc, s5, v1
	v_addc_co_u32_e32 v2, vcc, v2, v7, vcc
	global_store_dword v[1:2], v3, off
	v_and_or_b32 v3, v6, s6, v5
	v_cmp_ne_u32_e32 vcc, 0, v3
	v_cndmask_b32_e64 v3, 0, 1, vcc
	v_lshrrev_b32_e32 v5, 8, v6
	v_bfe_u32 v7, v6, 20, 11
	v_and_or_b32 v5, v5, s7, v3
	v_sub_u32_e32 v8, 0x3f1, v7
	v_or_b32_e32 v3, 0x1000, v5
	v_med3_i32 v8, v8, 0, 13
	v_lshrrev_b32_e32 v10, v8, v3
	v_lshlrev_b32_e32 v8, v8, v10
	v_mul_f16_sdwa v4, v45, v4 dst_sel:DWORD dst_unused:UNUSED_PAD src0_sel:WORD_1 src1_sel:DWORD
	v_cmp_ne_u32_e32 vcc, v8, v3
	v_fma_f16 v4, v45, v9, -v4
	v_cndmask_b32_e64 v3, 0, 1, vcc
	v_add_u32_e32 v7, 0xfffffc10, v7
	v_cvt_f32_f16_e32 v4, v4
	v_or_b32_e32 v3, v10, v3
	v_lshl_or_b32 v8, v7, 12, v5
	v_cmp_gt_i32_e32 vcc, 1, v7
	v_cndmask_b32_e32 v3, v8, v3, vcc
	v_and_b32_e32 v8, 7, v3
	v_cmp_lt_i32_e32 vcc, 5, v8
	v_cmp_eq_u32_e64 s[0:1], 3, v8
	v_lshrrev_b32_e32 v8, 2, v3
	v_cvt_f64_f32_e32 v[3:4], v4
	s_or_b64 vcc, s[0:1], vcc
	v_addc_co_u32_e32 v8, vcc, 0, v8, vcc
	v_mul_f64 v[3:4], v[3:4], s[2:3]
	v_cmp_gt_i32_e32 vcc, 31, v7
	v_cndmask_b32_e32 v8, v0, v8, vcc
	v_cmp_ne_u32_e32 vcc, 0, v5
	v_cndmask_b32_e64 v5, 0, 1, vcc
	v_lshl_or_b32 v5, v5, 9, v0
	v_cmp_eq_u32_e32 vcc, s10, v7
	v_cndmask_b32_e32 v5, v8, v5, vcc
	v_and_or_b32 v3, v4, s6, v3
	v_lshrrev_b32_e32 v6, 16, v6
	v_cmp_ne_u32_e32 vcc, 0, v3
	v_and_or_b32 v9, v6, s11, v5
	v_cndmask_b32_e64 v3, 0, 1, vcc
	v_lshrrev_b32_e32 v5, 8, v4
	v_bfe_u32 v6, v4, 20, 11
	v_and_or_b32 v3, v5, s7, v3
	v_sub_u32_e32 v7, 0x3f1, v6
	v_or_b32_e32 v5, 0x1000, v3
	v_med3_i32 v7, v7, 0, 13
	v_lshrrev_b32_e32 v8, v7, v5
	v_lshlrev_b32_e32 v7, v7, v8
	v_cmp_ne_u32_e32 vcc, v7, v5
	v_cndmask_b32_e64 v5, 0, 1, vcc
	v_add_u32_e32 v7, 0xfffffc10, v6
	v_or_b32_e32 v5, v8, v5
	v_lshl_or_b32 v6, v7, 12, v3
	v_cmp_gt_i32_e32 vcc, 1, v7
	v_cndmask_b32_e32 v5, v6, v5, vcc
	v_and_b32_e32 v6, 7, v5
	v_cmp_lt_i32_e32 vcc, 5, v6
	v_cmp_eq_u32_e64 s[0:1], 3, v6
	v_lshrrev_b32_e32 v5, 2, v5
	s_or_b64 vcc, s[0:1], vcc
	v_addc_co_u32_e32 v8, vcc, 0, v5, vcc
	v_add_u32_e32 v5, 0x1400, v41
	ds_read2_b32 v[5:6], v5 offset0:148 offset1:250
	v_cmp_gt_i32_e32 vcc, 31, v7
	v_cndmask_b32_e32 v8, v0, v8, vcc
	v_cmp_ne_u32_e32 vcc, 0, v3
	v_cndmask_b32_e64 v3, 0, 1, vcc
	s_waitcnt lgkmcnt(0)
	v_lshrrev_b32_e32 v10, 16, v5
	v_mul_f16_sdwa v11, v44, v10 dst_sel:DWORD dst_unused:UNUSED_PAD src0_sel:WORD_1 src1_sel:DWORD
	v_fma_f16 v11, v44, v5, v11
	v_cvt_f32_f16_e32 v11, v11
	v_lshl_or_b32 v3, v3, 9, v0
	v_cmp_eq_u32_e32 vcc, s10, v7
	v_cndmask_b32_e32 v3, v8, v3, vcc
	v_cvt_f64_f32_e32 v[7:8], v11
	v_lshrrev_b32_e32 v4, 16, v4
	v_and_or_b32 v11, v4, s11, v3
	v_add_co_u32_e32 v1, vcc, s5, v1
	v_mul_f64 v[3:4], v[7:8], s[2:3]
	v_mov_b32_e32 v8, s4
	v_and_b32_e32 v9, 0xffff, v9
	v_addc_co_u32_e32 v2, vcc, v2, v8, vcc
	v_lshl_or_b32 v7, v11, 16, v9
	global_store_dword v[1:2], v7, off
	v_mul_f16_sdwa v5, v44, v5 dst_sel:DWORD dst_unused:UNUSED_PAD src0_sel:WORD_1 src1_sel:DWORD
	v_and_or_b32 v3, v4, s6, v3
	v_cmp_ne_u32_e32 vcc, 0, v3
	v_cndmask_b32_e64 v3, 0, 1, vcc
	v_lshrrev_b32_e32 v7, 8, v4
	v_bfe_u32 v8, v4, 20, 11
	v_and_or_b32 v3, v7, s7, v3
	v_sub_u32_e32 v9, 0x3f1, v8
	v_or_b32_e32 v7, 0x1000, v3
	v_med3_i32 v9, v9, 0, 13
	v_lshrrev_b32_e32 v11, v9, v7
	v_lshlrev_b32_e32 v9, v9, v11
	v_cmp_ne_u32_e32 vcc, v9, v7
	v_fma_f16 v5, v44, v10, -v5
	v_cndmask_b32_e64 v7, 0, 1, vcc
	v_add_u32_e32 v9, 0xfffffc10, v8
	v_cvt_f32_f16_e32 v5, v5
	v_or_b32_e32 v7, v11, v7
	v_lshl_or_b32 v8, v9, 12, v3
	v_cmp_gt_i32_e32 vcc, 1, v9
	v_cndmask_b32_e32 v7, v8, v7, vcc
	v_and_b32_e32 v8, 7, v7
	v_cmp_lt_i32_e32 vcc, 5, v8
	v_cmp_eq_u32_e64 s[0:1], 3, v8
	v_lshrrev_b32_e32 v10, 2, v7
	v_cvt_f64_f32_e32 v[7:8], v5
	s_or_b64 vcc, s[0:1], vcc
	v_addc_co_u32_e32 v5, vcc, 0, v10, vcc
	v_mul_f64 v[7:8], v[7:8], s[2:3]
	v_cmp_gt_i32_e32 vcc, 31, v9
	v_cndmask_b32_e32 v5, v0, v5, vcc
	v_cmp_ne_u32_e32 vcc, 0, v3
	v_cndmask_b32_e64 v3, 0, 1, vcc
	v_lshl_or_b32 v3, v3, 9, v0
	v_cmp_eq_u32_e32 vcc, s10, v9
	v_cndmask_b32_e32 v3, v5, v3, vcc
	v_lshrrev_b32_e32 v4, 16, v4
	v_and_or_b32 v5, v4, s11, v3
	v_and_or_b32 v3, v8, s6, v7
	v_cmp_ne_u32_e32 vcc, 0, v3
	v_cndmask_b32_e64 v3, 0, 1, vcc
	v_lshrrev_b32_e32 v4, 8, v8
	v_bfe_u32 v7, v8, 20, 11
	v_and_or_b32 v3, v4, s7, v3
	v_sub_u32_e32 v9, 0x3f1, v7
	v_or_b32_e32 v4, 0x1000, v3
	v_med3_i32 v9, v9, 0, 13
	v_lshrrev_b32_e32 v10, v9, v4
	v_lshlrev_b32_e32 v9, v9, v10
	v_cmp_ne_u32_e32 vcc, v9, v4
	v_cndmask_b32_e64 v4, 0, 1, vcc
	v_add_u32_e32 v7, 0xfffffc10, v7
	v_or_b32_e32 v4, v10, v4
	v_lshl_or_b32 v9, v7, 12, v3
	v_cmp_gt_i32_e32 vcc, 1, v7
	v_cndmask_b32_e32 v4, v9, v4, vcc
	v_and_b32_e32 v9, 7, v4
	v_cmp_lt_i32_e32 vcc, 5, v9
	v_cmp_eq_u32_e64 s[0:1], 3, v9
	v_lshrrev_b32_e32 v9, 16, v6
	v_lshrrev_b32_e32 v4, 2, v4
	s_or_b64 vcc, s[0:1], vcc
	v_mul_f16_sdwa v10, v43, v9 dst_sel:DWORD dst_unused:UNUSED_PAD src0_sel:WORD_1 src1_sel:DWORD
	v_addc_co_u32_e32 v4, vcc, 0, v4, vcc
	v_fma_f16 v10, v43, v6, v10
	v_cmp_gt_i32_e32 vcc, 31, v7
	v_cvt_f32_f16_e32 v10, v10
	v_cndmask_b32_e32 v4, v0, v4, vcc
	v_cmp_ne_u32_e32 vcc, 0, v3
	v_cndmask_b32_e64 v3, 0, 1, vcc
	v_lshl_or_b32 v3, v3, 9, v0
	v_cmp_eq_u32_e32 vcc, s10, v7
	v_cndmask_b32_e32 v7, v4, v3, vcc
	v_cvt_f64_f32_e32 v[3:4], v10
	v_lshrrev_b32_e32 v8, 16, v8
	v_and_or_b32 v7, v8, s11, v7
	v_and_b32_e32 v5, 0xffff, v5
	v_mul_f64 v[3:4], v[3:4], s[2:3]
	v_lshl_or_b32 v5, v7, 16, v5
	v_mov_b32_e32 v7, s4
	v_add_co_u32_e32 v1, vcc, s5, v1
	v_addc_co_u32_e32 v2, vcc, v2, v7, vcc
	global_store_dword v[1:2], v5, off
	v_and_or_b32 v3, v4, s6, v3
	v_cmp_ne_u32_e32 vcc, 0, v3
	v_cndmask_b32_e64 v3, 0, 1, vcc
	v_lshrrev_b32_e32 v5, 8, v4
	v_bfe_u32 v7, v4, 20, 11
	v_and_or_b32 v3, v5, s7, v3
	v_sub_u32_e32 v8, 0x3f1, v7
	v_or_b32_e32 v5, 0x1000, v3
	v_med3_i32 v8, v8, 0, 13
	v_lshrrev_b32_e32 v10, v8, v5
	v_lshlrev_b32_e32 v8, v8, v10
	v_mul_f16_sdwa v6, v43, v6 dst_sel:DWORD dst_unused:UNUSED_PAD src0_sel:WORD_1 src1_sel:DWORD
	v_cmp_ne_u32_e32 vcc, v8, v5
	v_fma_f16 v6, v43, v9, -v6
	v_cndmask_b32_e64 v5, 0, 1, vcc
	v_add_u32_e32 v7, 0xfffffc10, v7
	v_cvt_f32_f16_e32 v6, v6
	v_or_b32_e32 v5, v10, v5
	v_lshl_or_b32 v8, v7, 12, v3
	v_cmp_gt_i32_e32 vcc, 1, v7
	v_cndmask_b32_e32 v5, v8, v5, vcc
	v_and_b32_e32 v8, 7, v5
	v_cmp_lt_i32_e32 vcc, 5, v8
	v_cmp_eq_u32_e64 s[0:1], 3, v8
	v_lshrrev_b32_e32 v8, 2, v5
	v_cvt_f64_f32_e32 v[5:6], v6
	s_or_b64 vcc, s[0:1], vcc
	v_addc_co_u32_e32 v8, vcc, 0, v8, vcc
	v_mul_f64 v[5:6], v[5:6], s[2:3]
	v_cmp_gt_i32_e32 vcc, 31, v7
	v_cndmask_b32_e32 v8, v0, v8, vcc
	v_cmp_ne_u32_e32 vcc, 0, v3
	v_cndmask_b32_e64 v3, 0, 1, vcc
	v_lshl_or_b32 v3, v3, 9, v0
	v_cmp_eq_u32_e32 vcc, s10, v7
	v_cndmask_b32_e32 v3, v8, v3, vcc
	v_lshrrev_b32_e32 v4, 16, v4
	v_and_or_b32 v7, v4, s11, v3
	v_and_or_b32 v3, v6, s6, v5
	v_cmp_ne_u32_e32 vcc, 0, v3
	v_cndmask_b32_e64 v3, 0, 1, vcc
	v_lshrrev_b32_e32 v4, 8, v6
	v_bfe_u32 v5, v6, 20, 11
	v_and_or_b32 v3, v4, s7, v3
	v_sub_u32_e32 v8, 0x3f1, v5
	v_or_b32_e32 v4, 0x1000, v3
	v_med3_i32 v8, v8, 0, 13
	v_lshrrev_b32_e32 v9, v8, v4
	v_lshlrev_b32_e32 v8, v8, v9
	v_cmp_ne_u32_e32 vcc, v8, v4
	v_cndmask_b32_e64 v4, 0, 1, vcc
	v_add_u32_e32 v5, 0xfffffc10, v5
	v_or_b32_e32 v4, v9, v4
	v_lshl_or_b32 v8, v5, 12, v3
	v_cmp_gt_i32_e32 vcc, 1, v5
	v_cndmask_b32_e32 v4, v8, v4, vcc
	v_and_b32_e32 v8, 7, v4
	v_cmp_lt_i32_e32 vcc, 5, v8
	v_cmp_eq_u32_e64 s[0:1], 3, v8
	ds_read_b32 v8, v41 offset:6528
	v_lshrrev_b32_e32 v4, 2, v4
	s_or_b64 vcc, s[0:1], vcc
	v_addc_co_u32_e32 v4, vcc, 0, v4, vcc
	s_waitcnt lgkmcnt(0)
	v_lshrrev_b32_e32 v9, 16, v8
	v_mul_f16_sdwa v10, v42, v9 dst_sel:DWORD dst_unused:UNUSED_PAD src0_sel:WORD_1 src1_sel:DWORD
	v_fma_f16 v10, v42, v8, v10
	v_cmp_gt_i32_e32 vcc, 31, v5
	v_cvt_f32_f16_e32 v10, v10
	v_cndmask_b32_e32 v4, v0, v4, vcc
	v_cmp_ne_u32_e32 vcc, 0, v3
	v_cndmask_b32_e64 v3, 0, 1, vcc
	v_lshl_or_b32 v3, v3, 9, v0
	v_cmp_eq_u32_e32 vcc, s10, v5
	v_cndmask_b32_e32 v5, v4, v3, vcc
	v_cvt_f64_f32_e32 v[3:4], v10
	v_lshrrev_b32_e32 v6, 16, v6
	v_and_or_b32 v5, v6, s11, v5
	v_and_b32_e32 v6, 0xffff, v7
	v_mul_f64 v[3:4], v[3:4], s[2:3]
	v_lshl_or_b32 v5, v5, 16, v6
	v_mov_b32_e32 v6, s4
	v_add_co_u32_e32 v1, vcc, s5, v1
	v_addc_co_u32_e32 v2, vcc, v2, v6, vcc
	global_store_dword v[1:2], v5, off
	v_and_or_b32 v3, v4, s6, v3
	v_cmp_ne_u32_e32 vcc, 0, v3
	v_cndmask_b32_e64 v3, 0, 1, vcc
	v_lshrrev_b32_e32 v5, 8, v4
	v_bfe_u32 v6, v4, 20, 11
	v_and_or_b32 v3, v5, s7, v3
	v_sub_u32_e32 v7, 0x3f1, v6
	v_or_b32_e32 v5, 0x1000, v3
	v_med3_i32 v7, v7, 0, 13
	v_lshrrev_b32_e32 v10, v7, v5
	v_lshlrev_b32_e32 v7, v7, v10
	v_mul_f16_sdwa v8, v42, v8 dst_sel:DWORD dst_unused:UNUSED_PAD src0_sel:WORD_1 src1_sel:DWORD
	v_cmp_ne_u32_e32 vcc, v7, v5
	v_fma_f16 v8, v42, v9, -v8
	v_cndmask_b32_e64 v5, 0, 1, vcc
	v_add_u32_e32 v7, 0xfffffc10, v6
	v_cvt_f32_f16_e32 v8, v8
	v_or_b32_e32 v5, v10, v5
	v_lshl_or_b32 v6, v7, 12, v3
	v_cmp_gt_i32_e32 vcc, 1, v7
	v_cndmask_b32_e32 v5, v6, v5, vcc
	v_and_b32_e32 v6, 7, v5
	v_cmp_lt_i32_e32 vcc, 5, v6
	v_cmp_eq_u32_e64 s[0:1], 3, v6
	v_lshrrev_b32_e32 v9, 2, v5
	v_cvt_f64_f32_e32 v[5:6], v8
	s_or_b64 vcc, s[0:1], vcc
	v_addc_co_u32_e32 v8, vcc, 0, v9, vcc
	v_mul_f64 v[5:6], v[5:6], s[2:3]
	v_cmp_gt_i32_e32 vcc, 31, v7
	v_cndmask_b32_e32 v8, v0, v8, vcc
	v_cmp_ne_u32_e32 vcc, 0, v3
	v_cndmask_b32_e64 v3, 0, 1, vcc
	v_lshl_or_b32 v3, v3, 9, v0
	v_cmp_eq_u32_e32 vcc, s10, v7
	v_cndmask_b32_e32 v3, v8, v3, vcc
	v_lshrrev_b32_e32 v4, 16, v4
	v_and_or_b32 v3, v4, s11, v3
	v_and_or_b32 v4, v6, s6, v5
	v_cmp_ne_u32_e32 vcc, 0, v4
	v_cndmask_b32_e64 v4, 0, 1, vcc
	v_lshrrev_b32_e32 v5, 8, v6
	v_bfe_u32 v7, v6, 20, 11
	v_and_or_b32 v4, v5, s7, v4
	v_sub_u32_e32 v8, 0x3f1, v7
	v_or_b32_e32 v5, 0x1000, v4
	v_med3_i32 v8, v8, 0, 13
	v_lshrrev_b32_e32 v9, v8, v5
	v_lshlrev_b32_e32 v8, v8, v9
	v_cmp_ne_u32_e32 vcc, v8, v5
	v_cndmask_b32_e64 v5, 0, 1, vcc
	v_add_u32_e32 v7, 0xfffffc10, v7
	v_or_b32_e32 v5, v9, v5
	v_lshl_or_b32 v8, v7, 12, v4
	v_cmp_gt_i32_e32 vcc, 1, v7
	v_cndmask_b32_e32 v5, v8, v5, vcc
	v_and_b32_e32 v8, 7, v5
	v_cmp_lt_i32_e32 vcc, 5, v8
	v_cmp_eq_u32_e64 s[0:1], 3, v8
	v_lshrrev_b32_e32 v5, 2, v5
	s_or_b64 vcc, s[0:1], vcc
	v_addc_co_u32_e32 v5, vcc, 0, v5, vcc
	v_cmp_gt_i32_e32 vcc, 31, v7
	v_cndmask_b32_e32 v5, v0, v5, vcc
	v_cmp_ne_u32_e32 vcc, 0, v4
	v_cndmask_b32_e64 v4, 0, 1, vcc
	v_lshl_or_b32 v0, v4, 9, v0
	v_cmp_eq_u32_e32 vcc, s10, v7
	v_cndmask_b32_e32 v0, v5, v0, vcc
	v_lshrrev_b32_e32 v4, 16, v6
	v_and_or_b32 v0, v4, s11, v0
	v_and_b32_e32 v3, 0xffff, v3
	v_lshl_or_b32 v3, v0, 16, v3
	v_mov_b32_e32 v4, s4
	v_add_co_u32_e32 v0, vcc, s5, v1
	v_addc_co_u32_e32 v1, vcc, v2, v4, vcc
	global_store_dword v[0:1], v3, off
.LBB0_10:
	s_endpgm
	.section	.rodata,"a",@progbits
	.p2align	6, 0x0
	.amdhsa_kernel bluestein_single_fwd_len1734_dim1_half_op_CI_CI
		.amdhsa_group_segment_fixed_size 6936
		.amdhsa_private_segment_fixed_size 0
		.amdhsa_kernarg_size 104
		.amdhsa_user_sgpr_count 6
		.amdhsa_user_sgpr_private_segment_buffer 1
		.amdhsa_user_sgpr_dispatch_ptr 0
		.amdhsa_user_sgpr_queue_ptr 0
		.amdhsa_user_sgpr_kernarg_segment_ptr 1
		.amdhsa_user_sgpr_dispatch_id 0
		.amdhsa_user_sgpr_flat_scratch_init 0
		.amdhsa_user_sgpr_private_segment_size 0
		.amdhsa_uses_dynamic_stack 0
		.amdhsa_system_sgpr_private_segment_wavefront_offset 0
		.amdhsa_system_sgpr_workgroup_id_x 1
		.amdhsa_system_sgpr_workgroup_id_y 0
		.amdhsa_system_sgpr_workgroup_id_z 0
		.amdhsa_system_sgpr_workgroup_info 0
		.amdhsa_system_vgpr_workitem_id 0
		.amdhsa_next_free_vgpr 120
		.amdhsa_next_free_sgpr 34
		.amdhsa_reserve_vcc 1
		.amdhsa_reserve_flat_scratch 0
		.amdhsa_float_round_mode_32 0
		.amdhsa_float_round_mode_16_64 0
		.amdhsa_float_denorm_mode_32 3
		.amdhsa_float_denorm_mode_16_64 3
		.amdhsa_dx10_clamp 1
		.amdhsa_ieee_mode 1
		.amdhsa_fp16_overflow 0
		.amdhsa_exception_fp_ieee_invalid_op 0
		.amdhsa_exception_fp_denorm_src 0
		.amdhsa_exception_fp_ieee_div_zero 0
		.amdhsa_exception_fp_ieee_overflow 0
		.amdhsa_exception_fp_ieee_underflow 0
		.amdhsa_exception_fp_ieee_inexact 0
		.amdhsa_exception_int_div_zero 0
	.end_amdhsa_kernel
	.text
.Lfunc_end0:
	.size	bluestein_single_fwd_len1734_dim1_half_op_CI_CI, .Lfunc_end0-bluestein_single_fwd_len1734_dim1_half_op_CI_CI
                                        ; -- End function
	.section	.AMDGPU.csdata,"",@progbits
; Kernel info:
; codeLenInByte = 35764
; NumSgprs: 38
; NumVgprs: 120
; ScratchSize: 0
; MemoryBound: 0
; FloatMode: 240
; IeeeMode: 1
; LDSByteSize: 6936 bytes/workgroup (compile time only)
; SGPRBlocks: 4
; VGPRBlocks: 29
; NumSGPRsForWavesPerEU: 38
; NumVGPRsForWavesPerEU: 120
; Occupancy: 2
; WaveLimiterHint : 1
; COMPUTE_PGM_RSRC2:SCRATCH_EN: 0
; COMPUTE_PGM_RSRC2:USER_SGPR: 6
; COMPUTE_PGM_RSRC2:TRAP_HANDLER: 0
; COMPUTE_PGM_RSRC2:TGID_X_EN: 1
; COMPUTE_PGM_RSRC2:TGID_Y_EN: 0
; COMPUTE_PGM_RSRC2:TGID_Z_EN: 0
; COMPUTE_PGM_RSRC2:TIDIG_COMP_CNT: 0
	.type	__hip_cuid_fe19d3b93e350540,@object ; @__hip_cuid_fe19d3b93e350540
	.section	.bss,"aw",@nobits
	.globl	__hip_cuid_fe19d3b93e350540
__hip_cuid_fe19d3b93e350540:
	.byte	0                               ; 0x0
	.size	__hip_cuid_fe19d3b93e350540, 1

	.ident	"AMD clang version 19.0.0git (https://github.com/RadeonOpenCompute/llvm-project roc-6.4.0 25133 c7fe45cf4b819c5991fe208aaa96edf142730f1d)"
	.section	".note.GNU-stack","",@progbits
	.addrsig
	.addrsig_sym __hip_cuid_fe19d3b93e350540
	.amdgpu_metadata
---
amdhsa.kernels:
  - .args:
      - .actual_access:  read_only
        .address_space:  global
        .offset:         0
        .size:           8
        .value_kind:     global_buffer
      - .actual_access:  read_only
        .address_space:  global
        .offset:         8
        .size:           8
        .value_kind:     global_buffer
      - .actual_access:  read_only
        .address_space:  global
        .offset:         16
        .size:           8
        .value_kind:     global_buffer
      - .actual_access:  read_only
        .address_space:  global
        .offset:         24
        .size:           8
        .value_kind:     global_buffer
      - .actual_access:  read_only
        .address_space:  global
        .offset:         32
        .size:           8
        .value_kind:     global_buffer
      - .offset:         40
        .size:           8
        .value_kind:     by_value
      - .address_space:  global
        .offset:         48
        .size:           8
        .value_kind:     global_buffer
      - .address_space:  global
        .offset:         56
        .size:           8
        .value_kind:     global_buffer
      - .address_space:  global
        .offset:         64
        .size:           8
        .value_kind:     global_buffer
      - .address_space:  global
        .offset:         72
        .size:           8
        .value_kind:     global_buffer
      - .offset:         80
        .size:           4
        .value_kind:     by_value
      - .address_space:  global
        .offset:         88
        .size:           8
        .value_kind:     global_buffer
      - .address_space:  global
        .offset:         96
        .size:           8
        .value_kind:     global_buffer
    .group_segment_fixed_size: 6936
    .kernarg_segment_align: 8
    .kernarg_segment_size: 104
    .language:       OpenCL C
    .language_version:
      - 2
      - 0
    .max_flat_workgroup_size: 102
    .name:           bluestein_single_fwd_len1734_dim1_half_op_CI_CI
    .private_segment_fixed_size: 0
    .sgpr_count:     38
    .sgpr_spill_count: 0
    .symbol:         bluestein_single_fwd_len1734_dim1_half_op_CI_CI.kd
    .uniform_work_group_size: 1
    .uses_dynamic_stack: false
    .vgpr_count:     120
    .vgpr_spill_count: 0
    .wavefront_size: 64
amdhsa.target:   amdgcn-amd-amdhsa--gfx906
amdhsa.version:
  - 1
  - 2
...

	.end_amdgpu_metadata
